;; amdgpu-corpus repo=ROCm/hipCUB kind=compiled arch=gfx90a opt=O3
	.text
	.amdgcn_target "amdgcn-amd-amdhsa--gfx90a"
	.amdhsa_code_object_version 6
	.section	.text._Z13reduce_kernelILj377ELN6hipcub20BlockReduceAlgorithmE2EhEvPT1_S3_,"axG",@progbits,_Z13reduce_kernelILj377ELN6hipcub20BlockReduceAlgorithmE2EhEvPT1_S3_,comdat
	.protected	_Z13reduce_kernelILj377ELN6hipcub20BlockReduceAlgorithmE2EhEvPT1_S3_ ; -- Begin function _Z13reduce_kernelILj377ELN6hipcub20BlockReduceAlgorithmE2EhEvPT1_S3_
	.globl	_Z13reduce_kernelILj377ELN6hipcub20BlockReduceAlgorithmE2EhEvPT1_S3_
	.p2align	8
	.type	_Z13reduce_kernelILj377ELN6hipcub20BlockReduceAlgorithmE2EhEvPT1_S3_,@function
_Z13reduce_kernelILj377ELN6hipcub20BlockReduceAlgorithmE2EhEvPT1_S3_: ; @_Z13reduce_kernelILj377ELN6hipcub20BlockReduceAlgorithmE2EhEvPT1_S3_
; %bb.0:
	s_load_dwordx4 s[0:3], s[4:5], 0x0
	s_mul_i32 s4, s6, 0x179
	v_add_u32_e32 v1, s4, v0
	v_cmp_lt_u32_e32 vcc, 63, v0
	s_waitcnt lgkmcnt(0)
	global_load_ubyte v1, v1, s[0:1]
	s_and_saveexec_b64 s[0:1], vcc
	s_cbranch_execz .LBB0_2
; %bb.1:
	s_waitcnt vmcnt(0)
	ds_write_b8 v0, v1
.LBB0_2:
	s_or_b64 exec, exec, s[0:1]
	v_cmp_gt_u32_e32 vcc, 64, v0
	s_waitcnt lgkmcnt(0)
	s_barrier
	s_and_saveexec_b64 s[0:1], vcc
	s_cbranch_execnz .LBB0_5
; %bb.3:
	s_or_b64 exec, exec, s[0:1]
	v_cmp_eq_u32_e32 vcc, 0, v0
	s_and_saveexec_b64 s[0:1], vcc
	s_cbranch_execnz .LBB0_8
.LBB0_4:
	s_endpgm
.LBB0_5:
	ds_read_u8 v2, v0 offset:64
	ds_read_u8 v3, v0 offset:128
	;; [unrolled: 1-line block ×4, first 2 shown]
	v_or_b32_e32 v6, 0x140, v0
	s_waitcnt vmcnt(0) lgkmcnt(3)
	v_add_u16_e32 v1, v2, v1
	s_waitcnt lgkmcnt(2)
	v_add_u16_e32 v1, v1, v3
	s_waitcnt lgkmcnt(1)
	v_add_u16_e32 v1, v1, v4
	s_movk_i32 s4, 0x179
	s_waitcnt lgkmcnt(0)
	v_add_u16_e32 v1, v1, v5
	v_cmp_gt_u32_e32 vcc, s4, v6
	s_and_saveexec_b64 s[4:5], vcc
	s_cbranch_execz .LBB0_7
; %bb.6:
	ds_read_u8 v2, v0 offset:320
	s_waitcnt lgkmcnt(0)
	v_add_u16_e32 v1, v2, v1
.LBB0_7:
	s_or_b64 exec, exec, s[4:5]
	v_and_b32_e32 v2, 0xff, v1
	v_bfrev_b32_e32 v3, 0.5
	s_nop 0
	v_mov_b32_dpp v2, v2 quad_perm:[1,0,3,2] row_mask:0xf bank_mask:0xf
	v_add_u16_e32 v1, v1, v2
	v_and_b32_e32 v2, 0xff, v1
	s_nop 1
	v_mov_b32_dpp v2, v2 quad_perm:[2,3,0,1] row_mask:0xf bank_mask:0xf
	v_add_u16_e32 v1, v1, v2
	v_and_b32_e32 v2, 0xff, v1
	s_nop 1
	v_mov_b32_dpp v2, v2 row_ror:4 row_mask:0xf bank_mask:0xf
	v_add_u16_e32 v1, v1, v2
	v_and_b32_e32 v2, 0xff, v1
	s_nop 1
	v_mov_b32_dpp v2, v2 row_ror:8 row_mask:0xf bank_mask:0xf
	v_add_u16_e32 v1, v1, v2
	v_and_b32_e32 v2, 0xff, v1
	s_nop 1
	v_mov_b32_dpp v2, v2 row_bcast:15 row_mask:0xf bank_mask:0xf
	v_add_u16_e32 v1, v1, v2
	v_and_b32_e32 v2, 0xff, v1
	s_nop 1
	v_mov_b32_dpp v2, v2 row_bcast:31 row_mask:0xf bank_mask:0xf
	v_add_u16_e32 v1, v1, v2
	v_mbcnt_lo_u32_b32 v2, -1, 0
	v_mbcnt_hi_u32_b32 v2, -1, v2
	v_and_b32_e32 v1, 0xff, v1
	v_lshl_or_b32 v2, v2, 2, v3
	ds_bpermute_b32 v1, v2, v1
	s_or_b64 exec, exec, s[0:1]
	v_cmp_eq_u32_e32 vcc, 0, v0
	s_and_saveexec_b64 s[0:1], vcc
	s_cbranch_execz .LBB0_4
.LBB0_8:
	v_mov_b32_e32 v0, s6
	s_waitcnt vmcnt(0) lgkmcnt(0)
	global_store_byte v0, v1, s[2:3]
	s_endpgm
	.section	.rodata,"a",@progbits
	.p2align	6, 0x0
	.amdhsa_kernel _Z13reduce_kernelILj377ELN6hipcub20BlockReduceAlgorithmE2EhEvPT1_S3_
		.amdhsa_group_segment_fixed_size 377
		.amdhsa_private_segment_fixed_size 0
		.amdhsa_kernarg_size 16
		.amdhsa_user_sgpr_count 6
		.amdhsa_user_sgpr_private_segment_buffer 1
		.amdhsa_user_sgpr_dispatch_ptr 0
		.amdhsa_user_sgpr_queue_ptr 0
		.amdhsa_user_sgpr_kernarg_segment_ptr 1
		.amdhsa_user_sgpr_dispatch_id 0
		.amdhsa_user_sgpr_flat_scratch_init 0
		.amdhsa_user_sgpr_kernarg_preload_length 0
		.amdhsa_user_sgpr_kernarg_preload_offset 0
		.amdhsa_user_sgpr_private_segment_size 0
		.amdhsa_uses_dynamic_stack 0
		.amdhsa_system_sgpr_private_segment_wavefront_offset 0
		.amdhsa_system_sgpr_workgroup_id_x 1
		.amdhsa_system_sgpr_workgroup_id_y 0
		.amdhsa_system_sgpr_workgroup_id_z 0
		.amdhsa_system_sgpr_workgroup_info 0
		.amdhsa_system_vgpr_workitem_id 0
		.amdhsa_next_free_vgpr 7
		.amdhsa_next_free_sgpr 7
		.amdhsa_accum_offset 8
		.amdhsa_reserve_vcc 1
		.amdhsa_reserve_flat_scratch 0
		.amdhsa_float_round_mode_32 0
		.amdhsa_float_round_mode_16_64 0
		.amdhsa_float_denorm_mode_32 3
		.amdhsa_float_denorm_mode_16_64 3
		.amdhsa_dx10_clamp 1
		.amdhsa_ieee_mode 1
		.amdhsa_fp16_overflow 0
		.amdhsa_tg_split 0
		.amdhsa_exception_fp_ieee_invalid_op 0
		.amdhsa_exception_fp_denorm_src 0
		.amdhsa_exception_fp_ieee_div_zero 0
		.amdhsa_exception_fp_ieee_overflow 0
		.amdhsa_exception_fp_ieee_underflow 0
		.amdhsa_exception_fp_ieee_inexact 0
		.amdhsa_exception_int_div_zero 0
	.end_amdhsa_kernel
	.section	.text._Z13reduce_kernelILj377ELN6hipcub20BlockReduceAlgorithmE2EhEvPT1_S3_,"axG",@progbits,_Z13reduce_kernelILj377ELN6hipcub20BlockReduceAlgorithmE2EhEvPT1_S3_,comdat
.Lfunc_end0:
	.size	_Z13reduce_kernelILj377ELN6hipcub20BlockReduceAlgorithmE2EhEvPT1_S3_, .Lfunc_end0-_Z13reduce_kernelILj377ELN6hipcub20BlockReduceAlgorithmE2EhEvPT1_S3_
                                        ; -- End function
	.section	.AMDGPU.csdata,"",@progbits
; Kernel info:
; codeLenInByte = 432
; NumSgprs: 11
; NumVgprs: 7
; NumAgprs: 0
; TotalNumVgprs: 7
; ScratchSize: 0
; MemoryBound: 0
; FloatMode: 240
; IeeeMode: 1
; LDSByteSize: 377 bytes/workgroup (compile time only)
; SGPRBlocks: 1
; VGPRBlocks: 0
; NumSGPRsForWavesPerEU: 11
; NumVGPRsForWavesPerEU: 7
; AccumOffset: 8
; Occupancy: 8
; WaveLimiterHint : 0
; COMPUTE_PGM_RSRC2:SCRATCH_EN: 0
; COMPUTE_PGM_RSRC2:USER_SGPR: 6
; COMPUTE_PGM_RSRC2:TRAP_HANDLER: 0
; COMPUTE_PGM_RSRC2:TGID_X_EN: 1
; COMPUTE_PGM_RSRC2:TGID_Y_EN: 0
; COMPUTE_PGM_RSRC2:TGID_Z_EN: 0
; COMPUTE_PGM_RSRC2:TIDIG_COMP_CNT: 0
; COMPUTE_PGM_RSRC3_GFX90A:ACCUM_OFFSET: 1
; COMPUTE_PGM_RSRC3_GFX90A:TG_SPLIT: 0
	.section	.text._Z13reduce_kernelILj377ELN6hipcub20BlockReduceAlgorithmE2EiEvPT1_S3_,"axG",@progbits,_Z13reduce_kernelILj377ELN6hipcub20BlockReduceAlgorithmE2EiEvPT1_S3_,comdat
	.protected	_Z13reduce_kernelILj377ELN6hipcub20BlockReduceAlgorithmE2EiEvPT1_S3_ ; -- Begin function _Z13reduce_kernelILj377ELN6hipcub20BlockReduceAlgorithmE2EiEvPT1_S3_
	.globl	_Z13reduce_kernelILj377ELN6hipcub20BlockReduceAlgorithmE2EiEvPT1_S3_
	.p2align	8
	.type	_Z13reduce_kernelILj377ELN6hipcub20BlockReduceAlgorithmE2EiEvPT1_S3_,@function
_Z13reduce_kernelILj377ELN6hipcub20BlockReduceAlgorithmE2EiEvPT1_S3_: ; @_Z13reduce_kernelILj377ELN6hipcub20BlockReduceAlgorithmE2EiEvPT1_S3_
; %bb.0:
	s_load_dwordx4 s[0:3], s[4:5], 0x0
	s_mul_i32 s4, s6, 0x179
	v_add_u32_e32 v2, s4, v0
	v_mov_b32_e32 v3, 0
	v_lshlrev_b64 v[2:3], 2, v[2:3]
	s_waitcnt lgkmcnt(0)
	v_mov_b32_e32 v1, s1
	v_add_co_u32_e32 v2, vcc, s0, v2
	v_addc_co_u32_e32 v3, vcc, v1, v3, vcc
	global_load_dword v1, v[2:3], off
	v_cmp_lt_u32_e32 vcc, 63, v0
	v_lshlrev_b32_e32 v2, 2, v0
	s_and_saveexec_b64 s[0:1], vcc
	s_cbranch_execz .LBB1_2
; %bb.1:
	s_waitcnt vmcnt(0)
	ds_write_b32 v2, v1
.LBB1_2:
	s_or_b64 exec, exec, s[0:1]
	v_cmp_gt_u32_e32 vcc, 64, v0
	s_waitcnt lgkmcnt(0)
	s_barrier
	s_and_saveexec_b64 s[0:1], vcc
	s_cbranch_execz .LBB1_6
; %bb.3:
	ds_read2st64_b32 v[4:5], v2 offset0:1 offset1:2
	ds_read2st64_b32 v[6:7], v2 offset0:3 offset1:4
	v_or_b32_e32 v3, 0x140, v0
	s_movk_i32 s4, 0x179
	v_cmp_gt_u32_e32 vcc, s4, v3
	s_waitcnt vmcnt(0) lgkmcnt(1)
	v_add3_u32 v1, v4, v1, v5
	s_waitcnt lgkmcnt(0)
	v_add3_u32 v1, v1, v6, v7
	s_and_saveexec_b64 s[4:5], vcc
	s_cbranch_execz .LBB1_5
; %bb.4:
	ds_read_b32 v2, v2 offset:1280
	s_waitcnt lgkmcnt(0)
	v_add_u32_e32 v1, v2, v1
.LBB1_5:
	s_or_b64 exec, exec, s[4:5]
	s_nop 0
	v_mov_b32_dpp v2, v1 quad_perm:[1,0,3,2] row_mask:0xf bank_mask:0xf
	v_add_u32_e32 v1, v2, v1
	v_bfrev_b32_e32 v3, 0.5
	s_nop 0
	v_mov_b32_dpp v2, v1 quad_perm:[2,3,0,1] row_mask:0xf bank_mask:0xf
	v_add_u32_e32 v1, v1, v2
	s_nop 1
	v_mov_b32_dpp v2, v1 row_ror:4 row_mask:0xf bank_mask:0xf
	v_add_u32_e32 v1, v1, v2
	s_nop 1
	v_mov_b32_dpp v2, v1 row_ror:8 row_mask:0xf bank_mask:0xf
	v_add_u32_e32 v1, v1, v2
	s_nop 1
	v_mov_b32_dpp v2, v1 row_bcast:15 row_mask:0xf bank_mask:0xf
	v_add_u32_e32 v1, v1, v2
	s_nop 1
	v_mov_b32_dpp v2, v1 row_bcast:31 row_mask:0xf bank_mask:0xf
	v_add_u32_e32 v1, v1, v2
	v_mbcnt_lo_u32_b32 v2, -1, 0
	v_mbcnt_hi_u32_b32 v2, -1, v2
	v_lshl_or_b32 v2, v2, 2, v3
	ds_bpermute_b32 v1, v2, v1
.LBB1_6:
	s_or_b64 exec, exec, s[0:1]
	s_mov_b32 s7, 0
	v_cmp_eq_u32_e32 vcc, 0, v0
	s_and_saveexec_b64 s[0:1], vcc
	s_cbranch_execz .LBB1_8
; %bb.7:
	s_lshl_b64 s[0:1], s[6:7], 2
	s_add_u32 s0, s2, s0
	s_addc_u32 s1, s3, s1
	v_mov_b32_e32 v0, 0
	s_waitcnt vmcnt(0) lgkmcnt(0)
	global_store_dword v0, v1, s[0:1]
.LBB1_8:
	s_endpgm
	.section	.rodata,"a",@progbits
	.p2align	6, 0x0
	.amdhsa_kernel _Z13reduce_kernelILj377ELN6hipcub20BlockReduceAlgorithmE2EiEvPT1_S3_
		.amdhsa_group_segment_fixed_size 1508
		.amdhsa_private_segment_fixed_size 0
		.amdhsa_kernarg_size 16
		.amdhsa_user_sgpr_count 6
		.amdhsa_user_sgpr_private_segment_buffer 1
		.amdhsa_user_sgpr_dispatch_ptr 0
		.amdhsa_user_sgpr_queue_ptr 0
		.amdhsa_user_sgpr_kernarg_segment_ptr 1
		.amdhsa_user_sgpr_dispatch_id 0
		.amdhsa_user_sgpr_flat_scratch_init 0
		.amdhsa_user_sgpr_kernarg_preload_length 0
		.amdhsa_user_sgpr_kernarg_preload_offset 0
		.amdhsa_user_sgpr_private_segment_size 0
		.amdhsa_uses_dynamic_stack 0
		.amdhsa_system_sgpr_private_segment_wavefront_offset 0
		.amdhsa_system_sgpr_workgroup_id_x 1
		.amdhsa_system_sgpr_workgroup_id_y 0
		.amdhsa_system_sgpr_workgroup_id_z 0
		.amdhsa_system_sgpr_workgroup_info 0
		.amdhsa_system_vgpr_workitem_id 0
		.amdhsa_next_free_vgpr 8
		.amdhsa_next_free_sgpr 8
		.amdhsa_accum_offset 8
		.amdhsa_reserve_vcc 1
		.amdhsa_reserve_flat_scratch 0
		.amdhsa_float_round_mode_32 0
		.amdhsa_float_round_mode_16_64 0
		.amdhsa_float_denorm_mode_32 3
		.amdhsa_float_denorm_mode_16_64 3
		.amdhsa_dx10_clamp 1
		.amdhsa_ieee_mode 1
		.amdhsa_fp16_overflow 0
		.amdhsa_tg_split 0
		.amdhsa_exception_fp_ieee_invalid_op 0
		.amdhsa_exception_fp_denorm_src 0
		.amdhsa_exception_fp_ieee_div_zero 0
		.amdhsa_exception_fp_ieee_overflow 0
		.amdhsa_exception_fp_ieee_underflow 0
		.amdhsa_exception_fp_ieee_inexact 0
		.amdhsa_exception_int_div_zero 0
	.end_amdhsa_kernel
	.section	.text._Z13reduce_kernelILj377ELN6hipcub20BlockReduceAlgorithmE2EiEvPT1_S3_,"axG",@progbits,_Z13reduce_kernelILj377ELN6hipcub20BlockReduceAlgorithmE2EiEvPT1_S3_,comdat
.Lfunc_end1:
	.size	_Z13reduce_kernelILj377ELN6hipcub20BlockReduceAlgorithmE2EiEvPT1_S3_, .Lfunc_end1-_Z13reduce_kernelILj377ELN6hipcub20BlockReduceAlgorithmE2EiEvPT1_S3_
                                        ; -- End function
	.section	.AMDGPU.csdata,"",@progbits
; Kernel info:
; codeLenInByte = 376
; NumSgprs: 12
; NumVgprs: 8
; NumAgprs: 0
; TotalNumVgprs: 8
; ScratchSize: 0
; MemoryBound: 0
; FloatMode: 240
; IeeeMode: 1
; LDSByteSize: 1508 bytes/workgroup (compile time only)
; SGPRBlocks: 1
; VGPRBlocks: 0
; NumSGPRsForWavesPerEU: 12
; NumVGPRsForWavesPerEU: 8
; AccumOffset: 8
; Occupancy: 8
; WaveLimiterHint : 0
; COMPUTE_PGM_RSRC2:SCRATCH_EN: 0
; COMPUTE_PGM_RSRC2:USER_SGPR: 6
; COMPUTE_PGM_RSRC2:TRAP_HANDLER: 0
; COMPUTE_PGM_RSRC2:TGID_X_EN: 1
; COMPUTE_PGM_RSRC2:TGID_Y_EN: 0
; COMPUTE_PGM_RSRC2:TGID_Z_EN: 0
; COMPUTE_PGM_RSRC2:TIDIG_COMP_CNT: 0
; COMPUTE_PGM_RSRC3_GFX90A:ACCUM_OFFSET: 1
; COMPUTE_PGM_RSRC3_GFX90A:TG_SPLIT: 0
	.section	.text._Z13reduce_kernelILj255ELN6hipcub20BlockReduceAlgorithmE2EjEvPT1_S3_,"axG",@progbits,_Z13reduce_kernelILj255ELN6hipcub20BlockReduceAlgorithmE2EjEvPT1_S3_,comdat
	.protected	_Z13reduce_kernelILj255ELN6hipcub20BlockReduceAlgorithmE2EjEvPT1_S3_ ; -- Begin function _Z13reduce_kernelILj255ELN6hipcub20BlockReduceAlgorithmE2EjEvPT1_S3_
	.globl	_Z13reduce_kernelILj255ELN6hipcub20BlockReduceAlgorithmE2EjEvPT1_S3_
	.p2align	8
	.type	_Z13reduce_kernelILj255ELN6hipcub20BlockReduceAlgorithmE2EjEvPT1_S3_,@function
_Z13reduce_kernelILj255ELN6hipcub20BlockReduceAlgorithmE2EjEvPT1_S3_: ; @_Z13reduce_kernelILj255ELN6hipcub20BlockReduceAlgorithmE2EjEvPT1_S3_
; %bb.0:
	s_load_dwordx4 s[0:3], s[4:5], 0x0
	s_mul_i32 s4, s6, 0xff
	v_add_u32_e32 v2, s4, v0
	v_mov_b32_e32 v3, 0
	v_lshlrev_b64 v[2:3], 2, v[2:3]
	s_waitcnt lgkmcnt(0)
	v_mov_b32_e32 v1, s1
	v_add_co_u32_e32 v2, vcc, s0, v2
	v_addc_co_u32_e32 v3, vcc, v1, v3, vcc
	global_load_dword v1, v[2:3], off
	v_cmp_lt_u32_e32 vcc, 63, v0
	v_lshlrev_b32_e32 v2, 2, v0
	s_and_saveexec_b64 s[0:1], vcc
	s_cbranch_execz .LBB2_2
; %bb.1:
	s_waitcnt vmcnt(0)
	ds_write_b32 v2, v1
.LBB2_2:
	s_or_b64 exec, exec, s[0:1]
	v_cmp_gt_u32_e32 vcc, 64, v0
	s_waitcnt lgkmcnt(0)
	s_barrier
	s_and_saveexec_b64 s[0:1], vcc
	s_cbranch_execz .LBB2_6
; %bb.3:
	ds_read2st64_b32 v[4:5], v2 offset0:1 offset1:2
	v_or_b32_e32 v3, 0xc0, v0
	s_movk_i32 s4, 0xff
	v_cmp_gt_u32_e32 vcc, s4, v3
	s_waitcnt vmcnt(0) lgkmcnt(0)
	v_add3_u32 v1, v4, v1, v5
	s_and_saveexec_b64 s[4:5], vcc
	s_cbranch_execz .LBB2_5
; %bb.4:
	ds_read_b32 v2, v2 offset:768
	s_waitcnt lgkmcnt(0)
	v_add_u32_e32 v1, v2, v1
.LBB2_5:
	s_or_b64 exec, exec, s[4:5]
	s_nop 0
	v_mov_b32_dpp v2, v1 quad_perm:[1,0,3,2] row_mask:0xf bank_mask:0xf
	v_add_u32_e32 v1, v2, v1
	v_bfrev_b32_e32 v3, 0.5
	s_nop 0
	v_mov_b32_dpp v2, v1 quad_perm:[2,3,0,1] row_mask:0xf bank_mask:0xf
	v_add_u32_e32 v1, v1, v2
	s_nop 1
	v_mov_b32_dpp v2, v1 row_ror:4 row_mask:0xf bank_mask:0xf
	v_add_u32_e32 v1, v1, v2
	s_nop 1
	v_mov_b32_dpp v2, v1 row_ror:8 row_mask:0xf bank_mask:0xf
	v_add_u32_e32 v1, v1, v2
	s_nop 1
	v_mov_b32_dpp v2, v1 row_bcast:15 row_mask:0xf bank_mask:0xf
	v_add_u32_e32 v1, v1, v2
	s_nop 1
	v_mov_b32_dpp v2, v1 row_bcast:31 row_mask:0xf bank_mask:0xf
	v_add_u32_e32 v1, v1, v2
	v_mbcnt_lo_u32_b32 v2, -1, 0
	v_mbcnt_hi_u32_b32 v2, -1, v2
	v_lshl_or_b32 v2, v2, 2, v3
	ds_bpermute_b32 v1, v2, v1
.LBB2_6:
	s_or_b64 exec, exec, s[0:1]
	s_mov_b32 s7, 0
	v_cmp_eq_u32_e32 vcc, 0, v0
	s_and_saveexec_b64 s[0:1], vcc
	s_cbranch_execz .LBB2_8
; %bb.7:
	s_lshl_b64 s[0:1], s[6:7], 2
	s_add_u32 s0, s2, s0
	s_addc_u32 s1, s3, s1
	v_mov_b32_e32 v0, 0
	s_waitcnt vmcnt(0) lgkmcnt(0)
	global_store_dword v0, v1, s[0:1]
.LBB2_8:
	s_endpgm
	.section	.rodata,"a",@progbits
	.p2align	6, 0x0
	.amdhsa_kernel _Z13reduce_kernelILj255ELN6hipcub20BlockReduceAlgorithmE2EjEvPT1_S3_
		.amdhsa_group_segment_fixed_size 1020
		.amdhsa_private_segment_fixed_size 0
		.amdhsa_kernarg_size 16
		.amdhsa_user_sgpr_count 6
		.amdhsa_user_sgpr_private_segment_buffer 1
		.amdhsa_user_sgpr_dispatch_ptr 0
		.amdhsa_user_sgpr_queue_ptr 0
		.amdhsa_user_sgpr_kernarg_segment_ptr 1
		.amdhsa_user_sgpr_dispatch_id 0
		.amdhsa_user_sgpr_flat_scratch_init 0
		.amdhsa_user_sgpr_kernarg_preload_length 0
		.amdhsa_user_sgpr_kernarg_preload_offset 0
		.amdhsa_user_sgpr_private_segment_size 0
		.amdhsa_uses_dynamic_stack 0
		.amdhsa_system_sgpr_private_segment_wavefront_offset 0
		.amdhsa_system_sgpr_workgroup_id_x 1
		.amdhsa_system_sgpr_workgroup_id_y 0
		.amdhsa_system_sgpr_workgroup_id_z 0
		.amdhsa_system_sgpr_workgroup_info 0
		.amdhsa_system_vgpr_workitem_id 0
		.amdhsa_next_free_vgpr 6
		.amdhsa_next_free_sgpr 8
		.amdhsa_accum_offset 8
		.amdhsa_reserve_vcc 1
		.amdhsa_reserve_flat_scratch 0
		.amdhsa_float_round_mode_32 0
		.amdhsa_float_round_mode_16_64 0
		.amdhsa_float_denorm_mode_32 3
		.amdhsa_float_denorm_mode_16_64 3
		.amdhsa_dx10_clamp 1
		.amdhsa_ieee_mode 1
		.amdhsa_fp16_overflow 0
		.amdhsa_tg_split 0
		.amdhsa_exception_fp_ieee_invalid_op 0
		.amdhsa_exception_fp_denorm_src 0
		.amdhsa_exception_fp_ieee_div_zero 0
		.amdhsa_exception_fp_ieee_overflow 0
		.amdhsa_exception_fp_ieee_underflow 0
		.amdhsa_exception_fp_ieee_inexact 0
		.amdhsa_exception_int_div_zero 0
	.end_amdhsa_kernel
	.section	.text._Z13reduce_kernelILj255ELN6hipcub20BlockReduceAlgorithmE2EjEvPT1_S3_,"axG",@progbits,_Z13reduce_kernelILj255ELN6hipcub20BlockReduceAlgorithmE2EjEvPT1_S3_,comdat
.Lfunc_end2:
	.size	_Z13reduce_kernelILj255ELN6hipcub20BlockReduceAlgorithmE2EjEvPT1_S3_, .Lfunc_end2-_Z13reduce_kernelILj255ELN6hipcub20BlockReduceAlgorithmE2EjEvPT1_S3_
                                        ; -- End function
	.section	.AMDGPU.csdata,"",@progbits
; Kernel info:
; codeLenInByte = 356
; NumSgprs: 12
; NumVgprs: 6
; NumAgprs: 0
; TotalNumVgprs: 6
; ScratchSize: 0
; MemoryBound: 0
; FloatMode: 240
; IeeeMode: 1
; LDSByteSize: 1020 bytes/workgroup (compile time only)
; SGPRBlocks: 1
; VGPRBlocks: 0
; NumSGPRsForWavesPerEU: 12
; NumVGPRsForWavesPerEU: 6
; AccumOffset: 8
; Occupancy: 8
; WaveLimiterHint : 0
; COMPUTE_PGM_RSRC2:SCRATCH_EN: 0
; COMPUTE_PGM_RSRC2:USER_SGPR: 6
; COMPUTE_PGM_RSRC2:TRAP_HANDLER: 0
; COMPUTE_PGM_RSRC2:TGID_X_EN: 1
; COMPUTE_PGM_RSRC2:TGID_Y_EN: 0
; COMPUTE_PGM_RSRC2:TGID_Z_EN: 0
; COMPUTE_PGM_RSRC2:TIDIG_COMP_CNT: 0
; COMPUTE_PGM_RSRC3_GFX90A:ACCUM_OFFSET: 1
; COMPUTE_PGM_RSRC3_GFX90A:TG_SPLIT: 0
	.section	.text._Z13reduce_kernelILj162ELN6hipcub20BlockReduceAlgorithmE2EsEvPT1_S3_,"axG",@progbits,_Z13reduce_kernelILj162ELN6hipcub20BlockReduceAlgorithmE2EsEvPT1_S3_,comdat
	.protected	_Z13reduce_kernelILj162ELN6hipcub20BlockReduceAlgorithmE2EsEvPT1_S3_ ; -- Begin function _Z13reduce_kernelILj162ELN6hipcub20BlockReduceAlgorithmE2EsEvPT1_S3_
	.globl	_Z13reduce_kernelILj162ELN6hipcub20BlockReduceAlgorithmE2EsEvPT1_S3_
	.p2align	8
	.type	_Z13reduce_kernelILj162ELN6hipcub20BlockReduceAlgorithmE2EsEvPT1_S3_,@function
_Z13reduce_kernelILj162ELN6hipcub20BlockReduceAlgorithmE2EsEvPT1_S3_: ; @_Z13reduce_kernelILj162ELN6hipcub20BlockReduceAlgorithmE2EsEvPT1_S3_
; %bb.0:
	s_load_dwordx4 s[0:3], s[4:5], 0x0
	s_mul_i32 s4, s6, 0xa2
	v_add_u32_e32 v2, s4, v0
	v_mov_b32_e32 v3, 0
	v_lshlrev_b64 v[2:3], 1, v[2:3]
	s_waitcnt lgkmcnt(0)
	v_mov_b32_e32 v1, s1
	v_add_co_u32_e32 v2, vcc, s0, v2
	v_addc_co_u32_e32 v3, vcc, v1, v3, vcc
	global_load_ushort v1, v[2:3], off
	v_cmp_lt_u32_e32 vcc, 63, v0
	v_lshlrev_b32_e32 v2, 1, v0
	s_and_saveexec_b64 s[0:1], vcc
	s_cbranch_execz .LBB3_2
; %bb.1:
	s_waitcnt vmcnt(0)
	ds_write_b16 v2, v1
.LBB3_2:
	s_or_b64 exec, exec, s[0:1]
	v_cmp_gt_u32_e32 vcc, 64, v0
	s_waitcnt lgkmcnt(0)
	s_barrier
	s_and_saveexec_b64 s[0:1], vcc
	s_cbranch_execz .LBB3_6
; %bb.3:
	ds_read_u16 v3, v2 offset:128
	v_or_b32_e32 v4, 0x80, v0
	s_movk_i32 s4, 0xa2
	v_cmp_gt_u32_e32 vcc, s4, v4
	s_waitcnt vmcnt(0) lgkmcnt(0)
	v_add_u16_e32 v1, v3, v1
	s_and_saveexec_b64 s[4:5], vcc
	s_cbranch_execz .LBB3_5
; %bb.4:
	ds_read_u16 v2, v2 offset:256
	s_waitcnt lgkmcnt(0)
	v_add_u16_e32 v1, v2, v1
.LBB3_5:
	s_or_b64 exec, exec, s[4:5]
	v_and_b32_e32 v2, 0xffff, v1
	v_bfrev_b32_e32 v3, 0.5
	s_nop 0
	v_mov_b32_dpp v2, v2 quad_perm:[1,0,3,2] row_mask:0xf bank_mask:0xf
	v_add_u16_e32 v1, v1, v2
	s_nop 1
	v_mov_b32_dpp v2, v1 quad_perm:[2,3,0,1] row_mask:0xf bank_mask:0xf
	v_add_u16_e32 v1, v1, v2
	s_nop 1
	v_mov_b32_dpp v2, v1 row_ror:4 row_mask:0xf bank_mask:0xf
	v_add_u16_e32 v1, v1, v2
	s_nop 1
	v_mov_b32_dpp v2, v1 row_ror:8 row_mask:0xf bank_mask:0xf
	v_add_u16_e32 v1, v1, v2
	s_nop 1
	v_mov_b32_dpp v2, v1 row_bcast:15 row_mask:0xf bank_mask:0xf
	v_add_u16_e32 v1, v1, v2
	s_nop 1
	v_mov_b32_dpp v2, v1 row_bcast:31 row_mask:0xf bank_mask:0xf
	v_add_u16_e32 v1, v1, v2
	v_mbcnt_lo_u32_b32 v2, -1, 0
	v_mbcnt_hi_u32_b32 v2, -1, v2
	v_lshl_or_b32 v2, v2, 2, v3
	ds_bpermute_b32 v1, v2, v1
.LBB3_6:
	s_or_b64 exec, exec, s[0:1]
	s_mov_b32 s7, 0
	v_cmp_eq_u32_e32 vcc, 0, v0
	s_and_saveexec_b64 s[0:1], vcc
	s_cbranch_execz .LBB3_8
; %bb.7:
	s_lshl_b64 s[0:1], s[6:7], 1
	s_add_u32 s0, s2, s0
	s_addc_u32 s1, s3, s1
	v_mov_b32_e32 v0, 0
	s_waitcnt vmcnt(0) lgkmcnt(0)
	global_store_short v0, v1, s[0:1]
.LBB3_8:
	s_endpgm
	.section	.rodata,"a",@progbits
	.p2align	6, 0x0
	.amdhsa_kernel _Z13reduce_kernelILj162ELN6hipcub20BlockReduceAlgorithmE2EsEvPT1_S3_
		.amdhsa_group_segment_fixed_size 324
		.amdhsa_private_segment_fixed_size 0
		.amdhsa_kernarg_size 16
		.amdhsa_user_sgpr_count 6
		.amdhsa_user_sgpr_private_segment_buffer 1
		.amdhsa_user_sgpr_dispatch_ptr 0
		.amdhsa_user_sgpr_queue_ptr 0
		.amdhsa_user_sgpr_kernarg_segment_ptr 1
		.amdhsa_user_sgpr_dispatch_id 0
		.amdhsa_user_sgpr_flat_scratch_init 0
		.amdhsa_user_sgpr_kernarg_preload_length 0
		.amdhsa_user_sgpr_kernarg_preload_offset 0
		.amdhsa_user_sgpr_private_segment_size 0
		.amdhsa_uses_dynamic_stack 0
		.amdhsa_system_sgpr_private_segment_wavefront_offset 0
		.amdhsa_system_sgpr_workgroup_id_x 1
		.amdhsa_system_sgpr_workgroup_id_y 0
		.amdhsa_system_sgpr_workgroup_id_z 0
		.amdhsa_system_sgpr_workgroup_info 0
		.amdhsa_system_vgpr_workitem_id 0
		.amdhsa_next_free_vgpr 5
		.amdhsa_next_free_sgpr 8
		.amdhsa_accum_offset 8
		.amdhsa_reserve_vcc 1
		.amdhsa_reserve_flat_scratch 0
		.amdhsa_float_round_mode_32 0
		.amdhsa_float_round_mode_16_64 0
		.amdhsa_float_denorm_mode_32 3
		.amdhsa_float_denorm_mode_16_64 3
		.amdhsa_dx10_clamp 1
		.amdhsa_ieee_mode 1
		.amdhsa_fp16_overflow 0
		.amdhsa_tg_split 0
		.amdhsa_exception_fp_ieee_invalid_op 0
		.amdhsa_exception_fp_denorm_src 0
		.amdhsa_exception_fp_ieee_div_zero 0
		.amdhsa_exception_fp_ieee_overflow 0
		.amdhsa_exception_fp_ieee_underflow 0
		.amdhsa_exception_fp_ieee_inexact 0
		.amdhsa_exception_int_div_zero 0
	.end_amdhsa_kernel
	.section	.text._Z13reduce_kernelILj162ELN6hipcub20BlockReduceAlgorithmE2EsEvPT1_S3_,"axG",@progbits,_Z13reduce_kernelILj162ELN6hipcub20BlockReduceAlgorithmE2EsEvPT1_S3_,comdat
.Lfunc_end3:
	.size	_Z13reduce_kernelILj162ELN6hipcub20BlockReduceAlgorithmE2EsEvPT1_S3_, .Lfunc_end3-_Z13reduce_kernelILj162ELN6hipcub20BlockReduceAlgorithmE2EsEvPT1_S3_
                                        ; -- End function
	.section	.AMDGPU.csdata,"",@progbits
; Kernel info:
; codeLenInByte = 360
; NumSgprs: 12
; NumVgprs: 5
; NumAgprs: 0
; TotalNumVgprs: 5
; ScratchSize: 0
; MemoryBound: 0
; FloatMode: 240
; IeeeMode: 1
; LDSByteSize: 324 bytes/workgroup (compile time only)
; SGPRBlocks: 1
; VGPRBlocks: 0
; NumSGPRsForWavesPerEU: 12
; NumVGPRsForWavesPerEU: 5
; AccumOffset: 8
; Occupancy: 8
; WaveLimiterHint : 0
; COMPUTE_PGM_RSRC2:SCRATCH_EN: 0
; COMPUTE_PGM_RSRC2:USER_SGPR: 6
; COMPUTE_PGM_RSRC2:TRAP_HANDLER: 0
; COMPUTE_PGM_RSRC2:TGID_X_EN: 1
; COMPUTE_PGM_RSRC2:TGID_Y_EN: 0
; COMPUTE_PGM_RSRC2:TGID_Z_EN: 0
; COMPUTE_PGM_RSRC2:TIDIG_COMP_CNT: 0
; COMPUTE_PGM_RSRC3_GFX90A:ACCUM_OFFSET: 1
; COMPUTE_PGM_RSRC3_GFX90A:TG_SPLIT: 0
	.section	.text._Z13reduce_kernelILj37ELN6hipcub20BlockReduceAlgorithmE2ElEvPT1_S3_,"axG",@progbits,_Z13reduce_kernelILj37ELN6hipcub20BlockReduceAlgorithmE2ElEvPT1_S3_,comdat
	.protected	_Z13reduce_kernelILj37ELN6hipcub20BlockReduceAlgorithmE2ElEvPT1_S3_ ; -- Begin function _Z13reduce_kernelILj37ELN6hipcub20BlockReduceAlgorithmE2ElEvPT1_S3_
	.globl	_Z13reduce_kernelILj37ELN6hipcub20BlockReduceAlgorithmE2ElEvPT1_S3_
	.p2align	8
	.type	_Z13reduce_kernelILj37ELN6hipcub20BlockReduceAlgorithmE2ElEvPT1_S3_,@function
_Z13reduce_kernelILj37ELN6hipcub20BlockReduceAlgorithmE2ElEvPT1_S3_: ; @_Z13reduce_kernelILj37ELN6hipcub20BlockReduceAlgorithmE2ElEvPT1_S3_
; %bb.0:
	s_load_dwordx4 s[0:3], s[4:5], 0x0
	v_mad_u64_u32 v[2:3], s[4:5], s6, 37, v[0:1]
	v_mov_b32_e32 v3, 0
	v_lshlrev_b64 v[2:3], 3, v[2:3]
	s_waitcnt lgkmcnt(0)
	v_mov_b32_e32 v1, s1
	v_add_co_u32_e32 v2, vcc, s0, v2
	v_addc_co_u32_e32 v3, vcc, v1, v3, vcc
	global_load_dwordx2 v[2:3], v[2:3], off
	v_cmp_lt_u32_e32 vcc, 63, v0
	s_and_saveexec_b64 s[0:1], vcc
	s_cbranch_execz .LBB4_2
; %bb.1:
	v_lshlrev_b32_e32 v1, 2, v0
	s_waitcnt vmcnt(0)
	ds_write2_b32 v1, v2, v3 offset1:37
.LBB4_2:
	s_or_b64 exec, exec, s[0:1]
	v_cmp_gt_u32_e32 vcc, 64, v0
	s_waitcnt lgkmcnt(0)
	; wave barrier
	s_waitcnt lgkmcnt(0)
	s_and_saveexec_b64 s[4:5], vcc
	s_cbranch_execz .LBB4_4
; %bb.3:
	v_mbcnt_lo_u32_b32 v1, -1, 0
	v_mbcnt_hi_u32_b32 v1, -1, v1
	v_and_b32_e32 v4, 63, v1
	v_cmp_ne_u32_e32 vcc, 63, v4
	v_addc_co_u32_e32 v5, vcc, 0, v1, vcc
	v_lshlrev_b32_e32 v5, 2, v5
	s_waitcnt vmcnt(0)
	ds_bpermute_b32 v6, v5, v2
	ds_bpermute_b32 v5, v5, v3
	v_add_u32_e32 v7, 1, v1
	v_cmp_gt_u32_e64 s[0:1], 62, v4
	v_add_u32_e32 v10, 2, v1
	s_waitcnt lgkmcnt(1)
	v_add_co_u32_e32 v6, vcc, v2, v6
	v_addc_co_u32_e32 v8, vcc, 0, v3, vcc
	v_add_co_u32_e32 v9, vcc, 0, v6
	s_waitcnt lgkmcnt(0)
	v_addc_co_u32_e32 v5, vcc, v5, v8, vcc
	v_cmp_gt_u32_e32 vcc, 37, v7
	v_cndmask_b32_e64 v7, 0, 1, s[0:1]
	v_lshlrev_b32_e32 v7, 1, v7
	v_cndmask_b32_e32 v6, v2, v6, vcc
	v_add_lshl_u32 v7, v7, v1, 2
	v_cndmask_b32_e32 v5, v3, v5, vcc
	ds_bpermute_b32 v8, v7, v6
	ds_bpermute_b32 v7, v7, v5
	v_cndmask_b32_e32 v9, v2, v9, vcc
	v_cmp_gt_u32_e64 s[0:1], 60, v4
	s_waitcnt lgkmcnt(1)
	v_add_co_u32_e32 v8, vcc, v8, v9
	s_waitcnt lgkmcnt(0)
	v_addc_co_u32_e32 v7, vcc, v7, v5, vcc
	v_cmp_gt_u32_e32 vcc, 37, v10
	v_cndmask_b32_e32 v5, v5, v7, vcc
	v_cndmask_b32_e64 v7, 0, 1, s[0:1]
	v_lshlrev_b32_e32 v7, 2, v7
	v_cndmask_b32_e32 v6, v6, v8, vcc
	v_add_lshl_u32 v7, v7, v1, 2
	ds_bpermute_b32 v10, v7, v6
	ds_bpermute_b32 v7, v7, v5
	v_cndmask_b32_e32 v8, v9, v8, vcc
	v_add_u32_e32 v9, 4, v1
	v_cmp_gt_u32_e64 s[0:1], 56, v4
	s_waitcnt lgkmcnt(1)
	v_add_co_u32_e32 v10, vcc, v10, v8
	s_waitcnt lgkmcnt(0)
	v_addc_co_u32_e32 v7, vcc, v7, v5, vcc
	v_cmp_gt_u32_e32 vcc, 37, v9
	v_cndmask_b32_e32 v5, v5, v7, vcc
	v_cndmask_b32_e64 v7, 0, 1, s[0:1]
	v_lshlrev_b32_e32 v7, 3, v7
	v_cndmask_b32_e32 v6, v6, v10, vcc
	v_add_lshl_u32 v7, v7, v1, 2
	ds_bpermute_b32 v9, v7, v6
	ds_bpermute_b32 v7, v7, v5
	v_cndmask_b32_e32 v8, v8, v10, vcc
	v_add_u32_e32 v10, 8, v1
	v_cmp_gt_u32_e64 s[0:1], 48, v4
	s_waitcnt lgkmcnt(1)
	v_add_co_u32_e32 v9, vcc, v9, v8
	s_waitcnt lgkmcnt(0)
	v_addc_co_u32_e32 v7, vcc, v7, v5, vcc
	v_cmp_gt_u32_e32 vcc, 37, v10
	v_cndmask_b32_e32 v5, v5, v7, vcc
	v_cndmask_b32_e64 v7, 0, 1, s[0:1]
	v_lshlrev_b32_e32 v7, 4, v7
	v_cndmask_b32_e32 v6, v6, v9, vcc
	v_add_lshl_u32 v7, v7, v1, 2
	ds_bpermute_b32 v10, v7, v6
	ds_bpermute_b32 v7, v7, v5
	v_cndmask_b32_e32 v8, v8, v9, vcc
	v_cmp_gt_u32_e64 s[0:1], 32, v4
	v_add_u32_e32 v9, 16, v1
	s_waitcnt lgkmcnt(1)
	v_add_co_u32_e32 v10, vcc, v10, v8
	s_waitcnt lgkmcnt(0)
	v_addc_co_u32_e32 v7, vcc, v7, v5, vcc
	v_cndmask_b32_e64 v4, 0, 1, s[0:1]
	v_cmp_gt_u32_e32 vcc, 37, v9
	v_lshlrev_b32_e32 v4, 5, v4
	v_cndmask_b32_e32 v6, v6, v10, vcc
	v_add_lshl_u32 v4, v4, v1, 2
	ds_bpermute_b32 v6, v4, v6
	v_cndmask_b32_e32 v5, v5, v7, vcc
	ds_bpermute_b32 v4, v4, v5
	v_add_u32_e32 v1, 32, v1
	v_cndmask_b32_e32 v7, v8, v10, vcc
	v_cmp_gt_u32_e32 vcc, 37, v1
	s_waitcnt lgkmcnt(1)
	v_cndmask_b32_e32 v6, 0, v6, vcc
	s_waitcnt lgkmcnt(0)
	v_cndmask_b32_e32 v4, 0, v4, vcc
	v_add_co_u32_e32 v6, vcc, v6, v7
	s_movk_i32 s0, 0x44
	v_addc_co_u32_e32 v4, vcc, v4, v5, vcc
	v_cmp_gt_u32_e32 vcc, s0, v1
	v_cndmask_b32_e32 v3, v3, v4, vcc
	v_cndmask_b32_e32 v2, v2, v6, vcc
.LBB4_4:
	s_or_b64 exec, exec, s[4:5]
	s_mov_b32 s7, 0
	v_cmp_eq_u32_e32 vcc, 0, v0
	s_and_saveexec_b64 s[0:1], vcc
	s_cbranch_execz .LBB4_6
; %bb.5:
	s_lshl_b64 s[0:1], s[6:7], 3
	s_add_u32 s0, s2, s0
	s_addc_u32 s1, s3, s1
	v_mov_b32_e32 v0, 0
	s_waitcnt vmcnt(0)
	global_store_dwordx2 v0, v[2:3], s[0:1]
.LBB4_6:
	s_endpgm
	.section	.rodata,"a",@progbits
	.p2align	6, 0x0
	.amdhsa_kernel _Z13reduce_kernelILj37ELN6hipcub20BlockReduceAlgorithmE2ElEvPT1_S3_
		.amdhsa_group_segment_fixed_size 296
		.amdhsa_private_segment_fixed_size 0
		.amdhsa_kernarg_size 16
		.amdhsa_user_sgpr_count 6
		.amdhsa_user_sgpr_private_segment_buffer 1
		.amdhsa_user_sgpr_dispatch_ptr 0
		.amdhsa_user_sgpr_queue_ptr 0
		.amdhsa_user_sgpr_kernarg_segment_ptr 1
		.amdhsa_user_sgpr_dispatch_id 0
		.amdhsa_user_sgpr_flat_scratch_init 0
		.amdhsa_user_sgpr_kernarg_preload_length 0
		.amdhsa_user_sgpr_kernarg_preload_offset 0
		.amdhsa_user_sgpr_private_segment_size 0
		.amdhsa_uses_dynamic_stack 0
		.amdhsa_system_sgpr_private_segment_wavefront_offset 0
		.amdhsa_system_sgpr_workgroup_id_x 1
		.amdhsa_system_sgpr_workgroup_id_y 0
		.amdhsa_system_sgpr_workgroup_id_z 0
		.amdhsa_system_sgpr_workgroup_info 0
		.amdhsa_system_vgpr_workitem_id 0
		.amdhsa_next_free_vgpr 11
		.amdhsa_next_free_sgpr 8
		.amdhsa_accum_offset 12
		.amdhsa_reserve_vcc 1
		.amdhsa_reserve_flat_scratch 0
		.amdhsa_float_round_mode_32 0
		.amdhsa_float_round_mode_16_64 0
		.amdhsa_float_denorm_mode_32 3
		.amdhsa_float_denorm_mode_16_64 3
		.amdhsa_dx10_clamp 1
		.amdhsa_ieee_mode 1
		.amdhsa_fp16_overflow 0
		.amdhsa_tg_split 0
		.amdhsa_exception_fp_ieee_invalid_op 0
		.amdhsa_exception_fp_denorm_src 0
		.amdhsa_exception_fp_ieee_div_zero 0
		.amdhsa_exception_fp_ieee_overflow 0
		.amdhsa_exception_fp_ieee_underflow 0
		.amdhsa_exception_fp_ieee_inexact 0
		.amdhsa_exception_int_div_zero 0
	.end_amdhsa_kernel
	.section	.text._Z13reduce_kernelILj37ELN6hipcub20BlockReduceAlgorithmE2ElEvPT1_S3_,"axG",@progbits,_Z13reduce_kernelILj37ELN6hipcub20BlockReduceAlgorithmE2ElEvPT1_S3_,comdat
.Lfunc_end4:
	.size	_Z13reduce_kernelILj37ELN6hipcub20BlockReduceAlgorithmE2ElEvPT1_S3_, .Lfunc_end4-_Z13reduce_kernelILj37ELN6hipcub20BlockReduceAlgorithmE2ElEvPT1_S3_
                                        ; -- End function
	.section	.AMDGPU.csdata,"",@progbits
; Kernel info:
; codeLenInByte = 664
; NumSgprs: 12
; NumVgprs: 11
; NumAgprs: 0
; TotalNumVgprs: 11
; ScratchSize: 0
; MemoryBound: 0
; FloatMode: 240
; IeeeMode: 1
; LDSByteSize: 296 bytes/workgroup (compile time only)
; SGPRBlocks: 1
; VGPRBlocks: 1
; NumSGPRsForWavesPerEU: 12
; NumVGPRsForWavesPerEU: 11
; AccumOffset: 12
; Occupancy: 8
; WaveLimiterHint : 0
; COMPUTE_PGM_RSRC2:SCRATCH_EN: 0
; COMPUTE_PGM_RSRC2:USER_SGPR: 6
; COMPUTE_PGM_RSRC2:TRAP_HANDLER: 0
; COMPUTE_PGM_RSRC2:TGID_X_EN: 1
; COMPUTE_PGM_RSRC2:TGID_Y_EN: 0
; COMPUTE_PGM_RSRC2:TGID_Z_EN: 0
; COMPUTE_PGM_RSRC2:TIDIG_COMP_CNT: 0
; COMPUTE_PGM_RSRC3_GFX90A:ACCUM_OFFSET: 2
; COMPUTE_PGM_RSRC3_GFX90A:TG_SPLIT: 0
	.section	.text._Z13reduce_kernelILj65ELN6hipcub20BlockReduceAlgorithmE2EmEvPT1_S3_,"axG",@progbits,_Z13reduce_kernelILj65ELN6hipcub20BlockReduceAlgorithmE2EmEvPT1_S3_,comdat
	.protected	_Z13reduce_kernelILj65ELN6hipcub20BlockReduceAlgorithmE2EmEvPT1_S3_ ; -- Begin function _Z13reduce_kernelILj65ELN6hipcub20BlockReduceAlgorithmE2EmEvPT1_S3_
	.globl	_Z13reduce_kernelILj65ELN6hipcub20BlockReduceAlgorithmE2EmEvPT1_S3_
	.p2align	8
	.type	_Z13reduce_kernelILj65ELN6hipcub20BlockReduceAlgorithmE2EmEvPT1_S3_,@function
_Z13reduce_kernelILj65ELN6hipcub20BlockReduceAlgorithmE2EmEvPT1_S3_: ; @_Z13reduce_kernelILj65ELN6hipcub20BlockReduceAlgorithmE2EmEvPT1_S3_
; %bb.0:
	s_load_dwordx4 s[0:3], s[4:5], 0x0
	s_mul_i32 s4, s6, 0x41
	v_add_u32_e32 v2, s4, v0
	v_mov_b32_e32 v3, 0
	v_lshlrev_b64 v[2:3], 3, v[2:3]
	s_waitcnt lgkmcnt(0)
	v_mov_b32_e32 v1, s1
	v_add_co_u32_e32 v2, vcc, s0, v2
	v_addc_co_u32_e32 v3, vcc, v1, v3, vcc
	global_load_dwordx2 v[2:3], v[2:3], off
	v_cmp_lt_u32_e32 vcc, 63, v0
	s_and_saveexec_b64 s[0:1], vcc
	s_cbranch_execz .LBB5_2
; %bb.1:
	v_lshlrev_b32_e32 v1, 2, v0
	s_waitcnt vmcnt(0)
	ds_write2_b32 v1, v2, v3 offset1:65
.LBB5_2:
	s_or_b64 exec, exec, s[0:1]
	v_cmp_gt_u32_e32 vcc, 64, v0
	s_waitcnt lgkmcnt(0)
	s_barrier
	s_and_saveexec_b64 s[0:1], vcc
	s_cbranch_execz .LBB5_6
; %bb.3:
	v_cmp_eq_u32_e32 vcc, 0, v0
	s_and_saveexec_b64 s[4:5], vcc
	s_cbranch_execz .LBB5_5
; %bb.4:
	v_mov_b32_e32 v1, 0
	ds_read2_b32 v[4:5], v1 offset0:64 offset1:129
	s_waitcnt vmcnt(0) lgkmcnt(0)
	v_add_co_u32_e32 v2, vcc, v4, v2
	v_addc_co_u32_e32 v3, vcc, v5, v3, vcc
.LBB5_5:
	s_or_b64 exec, exec, s[4:5]
	s_waitcnt vmcnt(0)
	v_mov_b32_dpp v1, v2 quad_perm:[1,0,3,2] row_mask:0xf bank_mask:0xf
	v_add_co_u32_e32 v1, vcc, v2, v1
	v_addc_co_u32_e32 v2, vcc, 0, v3, vcc
	v_mov_b32_dpp v4, v3 quad_perm:[1,0,3,2] row_mask:0xf bank_mask:0xf
	v_add_co_u32_e32 v3, vcc, 0, v1
	v_addc_co_u32_e32 v2, vcc, v4, v2, vcc
	v_mov_b32_dpp v1, v1 quad_perm:[2,3,0,1] row_mask:0xf bank_mask:0xf
	v_add_co_u32_e32 v1, vcc, v3, v1
	v_mov_b32_dpp v4, v2 quad_perm:[2,3,0,1] row_mask:0xf bank_mask:0xf
	v_addc_co_u32_e32 v2, vcc, 0, v2, vcc
	v_add_co_u32_e32 v3, vcc, 0, v1
	v_addc_co_u32_e32 v2, vcc, v2, v4, vcc
	v_mov_b32_dpp v1, v1 row_ror:4 row_mask:0xf bank_mask:0xf
	v_add_co_u32_e32 v1, vcc, v3, v1
	v_mov_b32_dpp v4, v2 row_ror:4 row_mask:0xf bank_mask:0xf
	v_addc_co_u32_e32 v2, vcc, 0, v2, vcc
	v_add_co_u32_e32 v3, vcc, 0, v1
	v_addc_co_u32_e32 v2, vcc, v2, v4, vcc
	v_mov_b32_dpp v1, v1 row_ror:8 row_mask:0xf bank_mask:0xf
	v_add_co_u32_e32 v1, vcc, v3, v1
	v_mov_b32_dpp v4, v2 row_ror:8 row_mask:0xf bank_mask:0xf
	v_addc_co_u32_e32 v2, vcc, 0, v2, vcc
	v_add_co_u32_e32 v3, vcc, 0, v1
	v_addc_co_u32_e32 v2, vcc, v2, v4, vcc
	v_mov_b32_dpp v1, v1 row_bcast:15 row_mask:0xf bank_mask:0xf
	v_add_co_u32_e32 v1, vcc, v3, v1
	v_mov_b32_dpp v4, v2 row_bcast:15 row_mask:0xf bank_mask:0xf
	v_addc_co_u32_e32 v2, vcc, 0, v2, vcc
	v_add_co_u32_e32 v3, vcc, 0, v1
	v_addc_co_u32_e32 v2, vcc, v2, v4, vcc
	v_mov_b32_dpp v1, v1 row_bcast:31 row_mask:0xf bank_mask:0xf
	v_add_co_u32_e32 v1, vcc, v3, v1
	v_mov_b32_dpp v4, v2 row_bcast:31 row_mask:0xf bank_mask:0xf
	v_addc_co_u32_e32 v2, vcc, 0, v2, vcc
	v_add_u32_e32 v3, v4, v2
	v_mbcnt_lo_u32_b32 v2, -1, 0
	v_mbcnt_hi_u32_b32 v2, -1, v2
	v_bfrev_b32_e32 v4, 0.5
	v_lshl_or_b32 v4, v2, 2, v4
	ds_bpermute_b32 v2, v4, v1
	ds_bpermute_b32 v3, v4, v3
.LBB5_6:
	s_or_b64 exec, exec, s[0:1]
	s_mov_b32 s7, 0
	v_cmp_eq_u32_e32 vcc, 0, v0
	s_and_saveexec_b64 s[0:1], vcc
	s_cbranch_execz .LBB5_8
; %bb.7:
	s_lshl_b64 s[0:1], s[6:7], 3
	s_add_u32 s0, s2, s0
	s_addc_u32 s1, s3, s1
	v_mov_b32_e32 v0, 0
	s_waitcnt vmcnt(0) lgkmcnt(0)
	global_store_dwordx2 v0, v[2:3], s[0:1]
.LBB5_8:
	s_endpgm
	.section	.rodata,"a",@progbits
	.p2align	6, 0x0
	.amdhsa_kernel _Z13reduce_kernelILj65ELN6hipcub20BlockReduceAlgorithmE2EmEvPT1_S3_
		.amdhsa_group_segment_fixed_size 520
		.amdhsa_private_segment_fixed_size 0
		.amdhsa_kernarg_size 16
		.amdhsa_user_sgpr_count 6
		.amdhsa_user_sgpr_private_segment_buffer 1
		.amdhsa_user_sgpr_dispatch_ptr 0
		.amdhsa_user_sgpr_queue_ptr 0
		.amdhsa_user_sgpr_kernarg_segment_ptr 1
		.amdhsa_user_sgpr_dispatch_id 0
		.amdhsa_user_sgpr_flat_scratch_init 0
		.amdhsa_user_sgpr_kernarg_preload_length 0
		.amdhsa_user_sgpr_kernarg_preload_offset 0
		.amdhsa_user_sgpr_private_segment_size 0
		.amdhsa_uses_dynamic_stack 0
		.amdhsa_system_sgpr_private_segment_wavefront_offset 0
		.amdhsa_system_sgpr_workgroup_id_x 1
		.amdhsa_system_sgpr_workgroup_id_y 0
		.amdhsa_system_sgpr_workgroup_id_z 0
		.amdhsa_system_sgpr_workgroup_info 0
		.amdhsa_system_vgpr_workitem_id 0
		.amdhsa_next_free_vgpr 6
		.amdhsa_next_free_sgpr 8
		.amdhsa_accum_offset 8
		.amdhsa_reserve_vcc 1
		.amdhsa_reserve_flat_scratch 0
		.amdhsa_float_round_mode_32 0
		.amdhsa_float_round_mode_16_64 0
		.amdhsa_float_denorm_mode_32 3
		.amdhsa_float_denorm_mode_16_64 3
		.amdhsa_dx10_clamp 1
		.amdhsa_ieee_mode 1
		.amdhsa_fp16_overflow 0
		.amdhsa_tg_split 0
		.amdhsa_exception_fp_ieee_invalid_op 0
		.amdhsa_exception_fp_denorm_src 0
		.amdhsa_exception_fp_ieee_div_zero 0
		.amdhsa_exception_fp_ieee_overflow 0
		.amdhsa_exception_fp_ieee_underflow 0
		.amdhsa_exception_fp_ieee_inexact 0
		.amdhsa_exception_int_div_zero 0
	.end_amdhsa_kernel
	.section	.text._Z13reduce_kernelILj65ELN6hipcub20BlockReduceAlgorithmE2EmEvPT1_S3_,"axG",@progbits,_Z13reduce_kernelILj65ELN6hipcub20BlockReduceAlgorithmE2EmEvPT1_S3_,comdat
.Lfunc_end5:
	.size	_Z13reduce_kernelILj65ELN6hipcub20BlockReduceAlgorithmE2EmEvPT1_S3_, .Lfunc_end5-_Z13reduce_kernelILj65ELN6hipcub20BlockReduceAlgorithmE2EmEvPT1_S3_
                                        ; -- End function
	.section	.AMDGPU.csdata,"",@progbits
; Kernel info:
; codeLenInByte = 436
; NumSgprs: 12
; NumVgprs: 6
; NumAgprs: 0
; TotalNumVgprs: 6
; ScratchSize: 0
; MemoryBound: 0
; FloatMode: 240
; IeeeMode: 1
; LDSByteSize: 520 bytes/workgroup (compile time only)
; SGPRBlocks: 1
; VGPRBlocks: 0
; NumSGPRsForWavesPerEU: 12
; NumVGPRsForWavesPerEU: 6
; AccumOffset: 8
; Occupancy: 8
; WaveLimiterHint : 0
; COMPUTE_PGM_RSRC2:SCRATCH_EN: 0
; COMPUTE_PGM_RSRC2:USER_SGPR: 6
; COMPUTE_PGM_RSRC2:TRAP_HANDLER: 0
; COMPUTE_PGM_RSRC2:TGID_X_EN: 1
; COMPUTE_PGM_RSRC2:TGID_Y_EN: 0
; COMPUTE_PGM_RSRC2:TGID_Z_EN: 0
; COMPUTE_PGM_RSRC2:TIDIG_COMP_CNT: 0
; COMPUTE_PGM_RSRC3_GFX90A:ACCUM_OFFSET: 1
; COMPUTE_PGM_RSRC3_GFX90A:TG_SPLIT: 0
	.section	.text._Z13reduce_kernelILj1024ELN6hipcub20BlockReduceAlgorithmE2EiEvPT1_S3_,"axG",@progbits,_Z13reduce_kernelILj1024ELN6hipcub20BlockReduceAlgorithmE2EiEvPT1_S3_,comdat
	.protected	_Z13reduce_kernelILj1024ELN6hipcub20BlockReduceAlgorithmE2EiEvPT1_S3_ ; -- Begin function _Z13reduce_kernelILj1024ELN6hipcub20BlockReduceAlgorithmE2EiEvPT1_S3_
	.globl	_Z13reduce_kernelILj1024ELN6hipcub20BlockReduceAlgorithmE2EiEvPT1_S3_
	.p2align	8
	.type	_Z13reduce_kernelILj1024ELN6hipcub20BlockReduceAlgorithmE2EiEvPT1_S3_,@function
_Z13reduce_kernelILj1024ELN6hipcub20BlockReduceAlgorithmE2EiEvPT1_S3_: ; @_Z13reduce_kernelILj1024ELN6hipcub20BlockReduceAlgorithmE2EiEvPT1_S3_
; %bb.0:
	s_load_dwordx4 s[0:3], s[4:5], 0x0
	v_lshl_or_b32 v2, s6, 10, v0
	v_mov_b32_e32 v3, 0
	v_lshlrev_b64 v[2:3], 2, v[2:3]
	s_waitcnt lgkmcnt(0)
	v_mov_b32_e32 v1, s1
	v_add_co_u32_e32 v2, vcc, s0, v2
	v_addc_co_u32_e32 v3, vcc, v1, v3, vcc
	global_load_dword v1, v[2:3], off
	v_cmp_lt_u32_e32 vcc, 63, v0
	v_lshlrev_b32_e32 v2, 2, v0
	s_and_saveexec_b64 s[0:1], vcc
	s_cbranch_execz .LBB6_2
; %bb.1:
	s_waitcnt vmcnt(0)
	ds_write_b32 v2, v1
.LBB6_2:
	s_or_b64 exec, exec, s[0:1]
	v_cmp_gt_u32_e32 vcc, 64, v0
	s_waitcnt lgkmcnt(0)
	s_barrier
	s_and_saveexec_b64 s[0:1], vcc
	s_cbranch_execz .LBB6_4
; %bb.3:
	ds_read2st64_b32 v[4:5], v2 offset0:1 offset1:2
	ds_read2st64_b32 v[6:7], v2 offset0:3 offset1:4
	ds_read2st64_b32 v[8:9], v2 offset0:5 offset1:6
	ds_read2st64_b32 v[10:11], v2 offset0:7 offset1:8
	v_bfrev_b32_e32 v3, 0.5
	s_waitcnt vmcnt(0) lgkmcnt(3)
	v_add_u32_e32 v1, v4, v1
	s_waitcnt lgkmcnt(2)
	v_add3_u32 v1, v1, v5, v6
	s_waitcnt lgkmcnt(1)
	v_add3_u32 v1, v1, v7, v8
	ds_read2st64_b32 v[4:5], v2 offset0:9 offset1:10
	ds_read2st64_b32 v[6:7], v2 offset0:11 offset1:12
	ds_read2st64_b32 v[12:13], v2 offset0:13 offset1:14
	ds_read_b32 v2, v2 offset:3840
	s_waitcnt lgkmcnt(4)
	v_add3_u32 v1, v1, v9, v10
	s_waitcnt lgkmcnt(3)
	v_add3_u32 v1, v1, v11, v4
	;; [unrolled: 2-line block ×5, first 2 shown]
	s_nop 1
	v_mov_b32_dpp v2, v1 quad_perm:[1,0,3,2] row_mask:0xf bank_mask:0xf
	v_add_u32_e32 v1, v2, v1
	s_nop 1
	v_mov_b32_dpp v2, v1 quad_perm:[2,3,0,1] row_mask:0xf bank_mask:0xf
	v_add_u32_e32 v1, v1, v2
	s_nop 1
	v_mov_b32_dpp v2, v1 row_ror:4 row_mask:0xf bank_mask:0xf
	v_add_u32_e32 v1, v1, v2
	s_nop 1
	v_mov_b32_dpp v2, v1 row_ror:8 row_mask:0xf bank_mask:0xf
	v_add_u32_e32 v1, v1, v2
	s_nop 1
	v_mov_b32_dpp v2, v1 row_bcast:15 row_mask:0xf bank_mask:0xf
	v_add_u32_e32 v1, v1, v2
	s_nop 1
	v_mov_b32_dpp v2, v1 row_bcast:31 row_mask:0xf bank_mask:0xf
	v_add_u32_e32 v1, v1, v2
	v_mbcnt_lo_u32_b32 v2, -1, 0
	v_mbcnt_hi_u32_b32 v2, -1, v2
	v_lshl_or_b32 v2, v2, 2, v3
	ds_bpermute_b32 v1, v2, v1
.LBB6_4:
	s_or_b64 exec, exec, s[0:1]
	s_mov_b32 s7, 0
	v_cmp_eq_u32_e32 vcc, 0, v0
	s_and_saveexec_b64 s[0:1], vcc
	s_cbranch_execz .LBB6_6
; %bb.5:
	s_lshl_b64 s[0:1], s[6:7], 2
	s_add_u32 s0, s2, s0
	s_addc_u32 s1, s3, s1
	v_mov_b32_e32 v0, 0
	s_waitcnt vmcnt(0) lgkmcnt(0)
	global_store_dword v0, v1, s[0:1]
.LBB6_6:
	s_endpgm
	.section	.rodata,"a",@progbits
	.p2align	6, 0x0
	.amdhsa_kernel _Z13reduce_kernelILj1024ELN6hipcub20BlockReduceAlgorithmE2EiEvPT1_S3_
		.amdhsa_group_segment_fixed_size 4096
		.amdhsa_private_segment_fixed_size 0
		.amdhsa_kernarg_size 16
		.amdhsa_user_sgpr_count 6
		.amdhsa_user_sgpr_private_segment_buffer 1
		.amdhsa_user_sgpr_dispatch_ptr 0
		.amdhsa_user_sgpr_queue_ptr 0
		.amdhsa_user_sgpr_kernarg_segment_ptr 1
		.amdhsa_user_sgpr_dispatch_id 0
		.amdhsa_user_sgpr_flat_scratch_init 0
		.amdhsa_user_sgpr_kernarg_preload_length 0
		.amdhsa_user_sgpr_kernarg_preload_offset 0
		.amdhsa_user_sgpr_private_segment_size 0
		.amdhsa_uses_dynamic_stack 0
		.amdhsa_system_sgpr_private_segment_wavefront_offset 0
		.amdhsa_system_sgpr_workgroup_id_x 1
		.amdhsa_system_sgpr_workgroup_id_y 0
		.amdhsa_system_sgpr_workgroup_id_z 0
		.amdhsa_system_sgpr_workgroup_info 0
		.amdhsa_system_vgpr_workitem_id 0
		.amdhsa_next_free_vgpr 14
		.amdhsa_next_free_sgpr 8
		.amdhsa_accum_offset 16
		.amdhsa_reserve_vcc 1
		.amdhsa_reserve_flat_scratch 0
		.amdhsa_float_round_mode_32 0
		.amdhsa_float_round_mode_16_64 0
		.amdhsa_float_denorm_mode_32 3
		.amdhsa_float_denorm_mode_16_64 3
		.amdhsa_dx10_clamp 1
		.amdhsa_ieee_mode 1
		.amdhsa_fp16_overflow 0
		.amdhsa_tg_split 0
		.amdhsa_exception_fp_ieee_invalid_op 0
		.amdhsa_exception_fp_denorm_src 0
		.amdhsa_exception_fp_ieee_div_zero 0
		.amdhsa_exception_fp_ieee_overflow 0
		.amdhsa_exception_fp_ieee_underflow 0
		.amdhsa_exception_fp_ieee_inexact 0
		.amdhsa_exception_int_div_zero 0
	.end_amdhsa_kernel
	.section	.text._Z13reduce_kernelILj1024ELN6hipcub20BlockReduceAlgorithmE2EiEvPT1_S3_,"axG",@progbits,_Z13reduce_kernelILj1024ELN6hipcub20BlockReduceAlgorithmE2EiEvPT1_S3_,comdat
.Lfunc_end6:
	.size	_Z13reduce_kernelILj1024ELN6hipcub20BlockReduceAlgorithmE2EiEvPT1_S3_, .Lfunc_end6-_Z13reduce_kernelILj1024ELN6hipcub20BlockReduceAlgorithmE2EiEvPT1_S3_
                                        ; -- End function
	.section	.AMDGPU.csdata,"",@progbits
; Kernel info:
; codeLenInByte = 444
; NumSgprs: 12
; NumVgprs: 14
; NumAgprs: 0
; TotalNumVgprs: 14
; ScratchSize: 0
; MemoryBound: 0
; FloatMode: 240
; IeeeMode: 1
; LDSByteSize: 4096 bytes/workgroup (compile time only)
; SGPRBlocks: 1
; VGPRBlocks: 1
; NumSGPRsForWavesPerEU: 12
; NumVGPRsForWavesPerEU: 14
; AccumOffset: 16
; Occupancy: 8
; WaveLimiterHint : 0
; COMPUTE_PGM_RSRC2:SCRATCH_EN: 0
; COMPUTE_PGM_RSRC2:USER_SGPR: 6
; COMPUTE_PGM_RSRC2:TRAP_HANDLER: 0
; COMPUTE_PGM_RSRC2:TGID_X_EN: 1
; COMPUTE_PGM_RSRC2:TGID_Y_EN: 0
; COMPUTE_PGM_RSRC2:TGID_Z_EN: 0
; COMPUTE_PGM_RSRC2:TIDIG_COMP_CNT: 0
; COMPUTE_PGM_RSRC3_GFX90A:ACCUM_OFFSET: 3
; COMPUTE_PGM_RSRC3_GFX90A:TG_SPLIT: 0
	.section	.text._Z13reduce_kernelILj512ELN6hipcub20BlockReduceAlgorithmE2EiEvPT1_S3_,"axG",@progbits,_Z13reduce_kernelILj512ELN6hipcub20BlockReduceAlgorithmE2EiEvPT1_S3_,comdat
	.protected	_Z13reduce_kernelILj512ELN6hipcub20BlockReduceAlgorithmE2EiEvPT1_S3_ ; -- Begin function _Z13reduce_kernelILj512ELN6hipcub20BlockReduceAlgorithmE2EiEvPT1_S3_
	.globl	_Z13reduce_kernelILj512ELN6hipcub20BlockReduceAlgorithmE2EiEvPT1_S3_
	.p2align	8
	.type	_Z13reduce_kernelILj512ELN6hipcub20BlockReduceAlgorithmE2EiEvPT1_S3_,@function
_Z13reduce_kernelILj512ELN6hipcub20BlockReduceAlgorithmE2EiEvPT1_S3_: ; @_Z13reduce_kernelILj512ELN6hipcub20BlockReduceAlgorithmE2EiEvPT1_S3_
; %bb.0:
	s_load_dwordx4 s[0:3], s[4:5], 0x0
	v_lshl_or_b32 v2, s6, 9, v0
	v_mov_b32_e32 v3, 0
	v_lshlrev_b64 v[2:3], 2, v[2:3]
	s_waitcnt lgkmcnt(0)
	v_mov_b32_e32 v1, s1
	v_add_co_u32_e32 v2, vcc, s0, v2
	v_addc_co_u32_e32 v3, vcc, v1, v3, vcc
	global_load_dword v1, v[2:3], off
	v_cmp_lt_u32_e32 vcc, 63, v0
	v_lshlrev_b32_e32 v2, 2, v0
	s_and_saveexec_b64 s[0:1], vcc
	s_cbranch_execz .LBB7_2
; %bb.1:
	s_waitcnt vmcnt(0)
	ds_write_b32 v2, v1
.LBB7_2:
	s_or_b64 exec, exec, s[0:1]
	v_cmp_gt_u32_e32 vcc, 64, v0
	s_waitcnt lgkmcnt(0)
	s_barrier
	s_and_saveexec_b64 s[0:1], vcc
	s_cbranch_execz .LBB7_4
; %bb.3:
	ds_read2st64_b32 v[4:5], v2 offset0:1 offset1:2
	ds_read2st64_b32 v[6:7], v2 offset0:3 offset1:4
	;; [unrolled: 1-line block ×3, first 2 shown]
	ds_read_b32 v2, v2 offset:1792
	v_mbcnt_lo_u32_b32 v3, -1, 0
	s_waitcnt vmcnt(0) lgkmcnt(3)
	v_add_u32_e32 v1, v4, v1
	s_waitcnt lgkmcnt(2)
	v_add3_u32 v1, v1, v5, v6
	s_waitcnt lgkmcnt(1)
	v_add3_u32 v1, v1, v7, v8
	;; [unrolled: 2-line block ×3, first 2 shown]
	s_nop 1
	v_mov_b32_dpp v2, v1 quad_perm:[1,0,3,2] row_mask:0xf bank_mask:0xf
	v_add_u32_e32 v1, v2, v1
	s_nop 1
	v_mov_b32_dpp v2, v1 quad_perm:[2,3,0,1] row_mask:0xf bank_mask:0xf
	v_add_u32_e32 v1, v1, v2
	s_nop 1
	v_mov_b32_dpp v2, v1 row_ror:4 row_mask:0xf bank_mask:0xf
	v_add_u32_e32 v1, v1, v2
	s_nop 1
	v_mov_b32_dpp v2, v1 row_ror:8 row_mask:0xf bank_mask:0xf
	v_add_u32_e32 v1, v1, v2
	s_nop 1
	v_mov_b32_dpp v2, v1 row_bcast:15 row_mask:0xf bank_mask:0xf
	v_add_u32_e32 v1, v1, v2
	s_nop 1
	v_mov_b32_dpp v2, v1 row_bcast:31 row_mask:0xf bank_mask:0xf
	v_add_u32_e32 v1, v1, v2
	v_mbcnt_hi_u32_b32 v2, -1, v3
	v_bfrev_b32_e32 v3, 0.5
	v_lshl_or_b32 v2, v2, 2, v3
	ds_bpermute_b32 v1, v2, v1
.LBB7_4:
	s_or_b64 exec, exec, s[0:1]
	s_mov_b32 s7, 0
	v_cmp_eq_u32_e32 vcc, 0, v0
	s_and_saveexec_b64 s[0:1], vcc
	s_cbranch_execz .LBB7_6
; %bb.5:
	s_lshl_b64 s[0:1], s[6:7], 2
	s_add_u32 s0, s2, s0
	s_addc_u32 s1, s3, s1
	v_mov_b32_e32 v0, 0
	s_waitcnt vmcnt(0) lgkmcnt(0)
	global_store_dword v0, v1, s[0:1]
.LBB7_6:
	s_endpgm
	.section	.rodata,"a",@progbits
	.p2align	6, 0x0
	.amdhsa_kernel _Z13reduce_kernelILj512ELN6hipcub20BlockReduceAlgorithmE2EiEvPT1_S3_
		.amdhsa_group_segment_fixed_size 2048
		.amdhsa_private_segment_fixed_size 0
		.amdhsa_kernarg_size 16
		.amdhsa_user_sgpr_count 6
		.amdhsa_user_sgpr_private_segment_buffer 1
		.amdhsa_user_sgpr_dispatch_ptr 0
		.amdhsa_user_sgpr_queue_ptr 0
		.amdhsa_user_sgpr_kernarg_segment_ptr 1
		.amdhsa_user_sgpr_dispatch_id 0
		.amdhsa_user_sgpr_flat_scratch_init 0
		.amdhsa_user_sgpr_kernarg_preload_length 0
		.amdhsa_user_sgpr_kernarg_preload_offset 0
		.amdhsa_user_sgpr_private_segment_size 0
		.amdhsa_uses_dynamic_stack 0
		.amdhsa_system_sgpr_private_segment_wavefront_offset 0
		.amdhsa_system_sgpr_workgroup_id_x 1
		.amdhsa_system_sgpr_workgroup_id_y 0
		.amdhsa_system_sgpr_workgroup_id_z 0
		.amdhsa_system_sgpr_workgroup_info 0
		.amdhsa_system_vgpr_workitem_id 0
		.amdhsa_next_free_vgpr 10
		.amdhsa_next_free_sgpr 8
		.amdhsa_accum_offset 12
		.amdhsa_reserve_vcc 1
		.amdhsa_reserve_flat_scratch 0
		.amdhsa_float_round_mode_32 0
		.amdhsa_float_round_mode_16_64 0
		.amdhsa_float_denorm_mode_32 3
		.amdhsa_float_denorm_mode_16_64 3
		.amdhsa_dx10_clamp 1
		.amdhsa_ieee_mode 1
		.amdhsa_fp16_overflow 0
		.amdhsa_tg_split 0
		.amdhsa_exception_fp_ieee_invalid_op 0
		.amdhsa_exception_fp_denorm_src 0
		.amdhsa_exception_fp_ieee_div_zero 0
		.amdhsa_exception_fp_ieee_overflow 0
		.amdhsa_exception_fp_ieee_underflow 0
		.amdhsa_exception_fp_ieee_inexact 0
		.amdhsa_exception_int_div_zero 0
	.end_amdhsa_kernel
	.section	.text._Z13reduce_kernelILj512ELN6hipcub20BlockReduceAlgorithmE2EiEvPT1_S3_,"axG",@progbits,_Z13reduce_kernelILj512ELN6hipcub20BlockReduceAlgorithmE2EiEvPT1_S3_,comdat
.Lfunc_end7:
	.size	_Z13reduce_kernelILj512ELN6hipcub20BlockReduceAlgorithmE2EiEvPT1_S3_, .Lfunc_end7-_Z13reduce_kernelILj512ELN6hipcub20BlockReduceAlgorithmE2EiEvPT1_S3_
                                        ; -- End function
	.section	.AMDGPU.csdata,"",@progbits
; Kernel info:
; codeLenInByte = 364
; NumSgprs: 12
; NumVgprs: 10
; NumAgprs: 0
; TotalNumVgprs: 10
; ScratchSize: 0
; MemoryBound: 0
; FloatMode: 240
; IeeeMode: 1
; LDSByteSize: 2048 bytes/workgroup (compile time only)
; SGPRBlocks: 1
; VGPRBlocks: 1
; NumSGPRsForWavesPerEU: 12
; NumVGPRsForWavesPerEU: 10
; AccumOffset: 12
; Occupancy: 8
; WaveLimiterHint : 0
; COMPUTE_PGM_RSRC2:SCRATCH_EN: 0
; COMPUTE_PGM_RSRC2:USER_SGPR: 6
; COMPUTE_PGM_RSRC2:TRAP_HANDLER: 0
; COMPUTE_PGM_RSRC2:TGID_X_EN: 1
; COMPUTE_PGM_RSRC2:TGID_Y_EN: 0
; COMPUTE_PGM_RSRC2:TGID_Z_EN: 0
; COMPUTE_PGM_RSRC2:TIDIG_COMP_CNT: 0
; COMPUTE_PGM_RSRC3_GFX90A:ACCUM_OFFSET: 2
; COMPUTE_PGM_RSRC3_GFX90A:TG_SPLIT: 0
	.section	.text._Z13reduce_kernelILj256ELN6hipcub20BlockReduceAlgorithmE2EiEvPT1_S3_,"axG",@progbits,_Z13reduce_kernelILj256ELN6hipcub20BlockReduceAlgorithmE2EiEvPT1_S3_,comdat
	.protected	_Z13reduce_kernelILj256ELN6hipcub20BlockReduceAlgorithmE2EiEvPT1_S3_ ; -- Begin function _Z13reduce_kernelILj256ELN6hipcub20BlockReduceAlgorithmE2EiEvPT1_S3_
	.globl	_Z13reduce_kernelILj256ELN6hipcub20BlockReduceAlgorithmE2EiEvPT1_S3_
	.p2align	8
	.type	_Z13reduce_kernelILj256ELN6hipcub20BlockReduceAlgorithmE2EiEvPT1_S3_,@function
_Z13reduce_kernelILj256ELN6hipcub20BlockReduceAlgorithmE2EiEvPT1_S3_: ; @_Z13reduce_kernelILj256ELN6hipcub20BlockReduceAlgorithmE2EiEvPT1_S3_
; %bb.0:
	s_load_dwordx4 s[0:3], s[4:5], 0x0
	v_lshl_or_b32 v2, s6, 8, v0
	v_mov_b32_e32 v3, 0
	v_lshlrev_b64 v[2:3], 2, v[2:3]
	s_waitcnt lgkmcnt(0)
	v_mov_b32_e32 v1, s1
	v_add_co_u32_e32 v2, vcc, s0, v2
	v_addc_co_u32_e32 v3, vcc, v1, v3, vcc
	global_load_dword v1, v[2:3], off
	v_cmp_lt_u32_e32 vcc, 63, v0
	v_lshlrev_b32_e32 v2, 2, v0
	s_and_saveexec_b64 s[0:1], vcc
	s_cbranch_execz .LBB8_2
; %bb.1:
	s_waitcnt vmcnt(0)
	ds_write_b32 v2, v1
.LBB8_2:
	s_or_b64 exec, exec, s[0:1]
	v_cmp_gt_u32_e32 vcc, 64, v0
	s_waitcnt lgkmcnt(0)
	s_barrier
	s_and_saveexec_b64 s[0:1], vcc
	s_cbranch_execz .LBB8_4
; %bb.3:
	ds_read2st64_b32 v[4:5], v2 offset0:1 offset1:2
	ds_read_b32 v2, v2 offset:768
	v_mbcnt_lo_u32_b32 v3, -1, 0
	v_bfrev_b32_e32 v6, 0.5
	v_mbcnt_hi_u32_b32 v3, -1, v3
	s_waitcnt vmcnt(0) lgkmcnt(1)
	v_add_u32_e32 v1, v4, v1
	s_waitcnt lgkmcnt(0)
	v_add3_u32 v1, v1, v5, v2
	s_nop 1
	v_mov_b32_dpp v2, v1 quad_perm:[1,0,3,2] row_mask:0xf bank_mask:0xf
	v_add_u32_e32 v1, v2, v1
	s_nop 1
	v_mov_b32_dpp v2, v1 quad_perm:[2,3,0,1] row_mask:0xf bank_mask:0xf
	v_add_u32_e32 v1, v1, v2
	s_nop 1
	v_mov_b32_dpp v2, v1 row_ror:4 row_mask:0xf bank_mask:0xf
	v_add_u32_e32 v1, v1, v2
	s_nop 1
	v_mov_b32_dpp v2, v1 row_ror:8 row_mask:0xf bank_mask:0xf
	v_add_u32_e32 v1, v1, v2
	s_nop 1
	v_mov_b32_dpp v2, v1 row_bcast:15 row_mask:0xf bank_mask:0xf
	v_add_u32_e32 v1, v1, v2
	s_nop 1
	v_mov_b32_dpp v2, v1 row_bcast:31 row_mask:0xf bank_mask:0xf
	v_add_u32_e32 v1, v1, v2
	v_lshl_or_b32 v2, v3, 2, v6
	ds_bpermute_b32 v1, v2, v1
.LBB8_4:
	s_or_b64 exec, exec, s[0:1]
	s_mov_b32 s7, 0
	v_cmp_eq_u32_e32 vcc, 0, v0
	s_and_saveexec_b64 s[0:1], vcc
	s_cbranch_execz .LBB8_6
; %bb.5:
	s_lshl_b64 s[0:1], s[6:7], 2
	s_add_u32 s0, s2, s0
	s_addc_u32 s1, s3, s1
	v_mov_b32_e32 v0, 0
	s_waitcnt vmcnt(0) lgkmcnt(0)
	global_store_dword v0, v1, s[0:1]
.LBB8_6:
	s_endpgm
	.section	.rodata,"a",@progbits
	.p2align	6, 0x0
	.amdhsa_kernel _Z13reduce_kernelILj256ELN6hipcub20BlockReduceAlgorithmE2EiEvPT1_S3_
		.amdhsa_group_segment_fixed_size 1024
		.amdhsa_private_segment_fixed_size 0
		.amdhsa_kernarg_size 16
		.amdhsa_user_sgpr_count 6
		.amdhsa_user_sgpr_private_segment_buffer 1
		.amdhsa_user_sgpr_dispatch_ptr 0
		.amdhsa_user_sgpr_queue_ptr 0
		.amdhsa_user_sgpr_kernarg_segment_ptr 1
		.amdhsa_user_sgpr_dispatch_id 0
		.amdhsa_user_sgpr_flat_scratch_init 0
		.amdhsa_user_sgpr_kernarg_preload_length 0
		.amdhsa_user_sgpr_kernarg_preload_offset 0
		.amdhsa_user_sgpr_private_segment_size 0
		.amdhsa_uses_dynamic_stack 0
		.amdhsa_system_sgpr_private_segment_wavefront_offset 0
		.amdhsa_system_sgpr_workgroup_id_x 1
		.amdhsa_system_sgpr_workgroup_id_y 0
		.amdhsa_system_sgpr_workgroup_id_z 0
		.amdhsa_system_sgpr_workgroup_info 0
		.amdhsa_system_vgpr_workitem_id 0
		.amdhsa_next_free_vgpr 7
		.amdhsa_next_free_sgpr 8
		.amdhsa_accum_offset 8
		.amdhsa_reserve_vcc 1
		.amdhsa_reserve_flat_scratch 0
		.amdhsa_float_round_mode_32 0
		.amdhsa_float_round_mode_16_64 0
		.amdhsa_float_denorm_mode_32 3
		.amdhsa_float_denorm_mode_16_64 3
		.amdhsa_dx10_clamp 1
		.amdhsa_ieee_mode 1
		.amdhsa_fp16_overflow 0
		.amdhsa_tg_split 0
		.amdhsa_exception_fp_ieee_invalid_op 0
		.amdhsa_exception_fp_denorm_src 0
		.amdhsa_exception_fp_ieee_div_zero 0
		.amdhsa_exception_fp_ieee_overflow 0
		.amdhsa_exception_fp_ieee_underflow 0
		.amdhsa_exception_fp_ieee_inexact 0
		.amdhsa_exception_int_div_zero 0
	.end_amdhsa_kernel
	.section	.text._Z13reduce_kernelILj256ELN6hipcub20BlockReduceAlgorithmE2EiEvPT1_S3_,"axG",@progbits,_Z13reduce_kernelILj256ELN6hipcub20BlockReduceAlgorithmE2EiEvPT1_S3_,comdat
.Lfunc_end8:
	.size	_Z13reduce_kernelILj256ELN6hipcub20BlockReduceAlgorithmE2EiEvPT1_S3_, .Lfunc_end8-_Z13reduce_kernelILj256ELN6hipcub20BlockReduceAlgorithmE2EiEvPT1_S3_
                                        ; -- End function
	.section	.AMDGPU.csdata,"",@progbits
; Kernel info:
; codeLenInByte = 324
; NumSgprs: 12
; NumVgprs: 7
; NumAgprs: 0
; TotalNumVgprs: 7
; ScratchSize: 0
; MemoryBound: 0
; FloatMode: 240
; IeeeMode: 1
; LDSByteSize: 1024 bytes/workgroup (compile time only)
; SGPRBlocks: 1
; VGPRBlocks: 0
; NumSGPRsForWavesPerEU: 12
; NumVGPRsForWavesPerEU: 7
; AccumOffset: 8
; Occupancy: 8
; WaveLimiterHint : 0
; COMPUTE_PGM_RSRC2:SCRATCH_EN: 0
; COMPUTE_PGM_RSRC2:USER_SGPR: 6
; COMPUTE_PGM_RSRC2:TRAP_HANDLER: 0
; COMPUTE_PGM_RSRC2:TGID_X_EN: 1
; COMPUTE_PGM_RSRC2:TGID_Y_EN: 0
; COMPUTE_PGM_RSRC2:TGID_Z_EN: 0
; COMPUTE_PGM_RSRC2:TIDIG_COMP_CNT: 0
; COMPUTE_PGM_RSRC3_GFX90A:ACCUM_OFFSET: 1
; COMPUTE_PGM_RSRC3_GFX90A:TG_SPLIT: 0
	.section	.text._Z13reduce_kernelILj192ELN6hipcub20BlockReduceAlgorithmE2EiEvPT1_S3_,"axG",@progbits,_Z13reduce_kernelILj192ELN6hipcub20BlockReduceAlgorithmE2EiEvPT1_S3_,comdat
	.protected	_Z13reduce_kernelILj192ELN6hipcub20BlockReduceAlgorithmE2EiEvPT1_S3_ ; -- Begin function _Z13reduce_kernelILj192ELN6hipcub20BlockReduceAlgorithmE2EiEvPT1_S3_
	.globl	_Z13reduce_kernelILj192ELN6hipcub20BlockReduceAlgorithmE2EiEvPT1_S3_
	.p2align	8
	.type	_Z13reduce_kernelILj192ELN6hipcub20BlockReduceAlgorithmE2EiEvPT1_S3_,@function
_Z13reduce_kernelILj192ELN6hipcub20BlockReduceAlgorithmE2EiEvPT1_S3_: ; @_Z13reduce_kernelILj192ELN6hipcub20BlockReduceAlgorithmE2EiEvPT1_S3_
; %bb.0:
	s_load_dwordx4 s[0:3], s[4:5], 0x0
	s_mul_i32 s4, s6, 0xc0
	v_add_u32_e32 v2, s4, v0
	v_mov_b32_e32 v3, 0
	v_lshlrev_b64 v[2:3], 2, v[2:3]
	s_waitcnt lgkmcnt(0)
	v_mov_b32_e32 v1, s1
	v_add_co_u32_e32 v2, vcc, s0, v2
	v_addc_co_u32_e32 v3, vcc, v1, v3, vcc
	global_load_dword v1, v[2:3], off
	v_cmp_lt_u32_e32 vcc, 63, v0
	v_lshlrev_b32_e32 v2, 2, v0
	s_and_saveexec_b64 s[0:1], vcc
	s_cbranch_execz .LBB9_2
; %bb.1:
	s_waitcnt vmcnt(0)
	ds_write_b32 v2, v1
.LBB9_2:
	s_or_b64 exec, exec, s[0:1]
	v_cmp_gt_u32_e32 vcc, 64, v0
	s_waitcnt lgkmcnt(0)
	s_barrier
	s_and_saveexec_b64 s[0:1], vcc
	s_cbranch_execz .LBB9_4
; %bb.3:
	ds_read2st64_b32 v[2:3], v2 offset0:1 offset1:2
	v_mbcnt_lo_u32_b32 v4, -1, 0
	v_bfrev_b32_e32 v5, 0.5
	v_mbcnt_hi_u32_b32 v4, -1, v4
	s_waitcnt vmcnt(0) lgkmcnt(0)
	v_add3_u32 v1, v2, v1, v3
	s_nop 1
	v_mov_b32_dpp v2, v1 quad_perm:[1,0,3,2] row_mask:0xf bank_mask:0xf
	v_add_u32_e32 v1, v2, v1
	s_nop 1
	v_mov_b32_dpp v2, v1 quad_perm:[2,3,0,1] row_mask:0xf bank_mask:0xf
	v_add_u32_e32 v1, v1, v2
	s_nop 1
	v_mov_b32_dpp v2, v1 row_ror:4 row_mask:0xf bank_mask:0xf
	v_add_u32_e32 v1, v1, v2
	s_nop 1
	v_mov_b32_dpp v2, v1 row_ror:8 row_mask:0xf bank_mask:0xf
	v_add_u32_e32 v1, v1, v2
	s_nop 1
	v_mov_b32_dpp v2, v1 row_bcast:15 row_mask:0xf bank_mask:0xf
	v_add_u32_e32 v1, v1, v2
	s_nop 1
	v_mov_b32_dpp v2, v1 row_bcast:31 row_mask:0xf bank_mask:0xf
	v_add_u32_e32 v1, v1, v2
	v_lshl_or_b32 v2, v4, 2, v5
	ds_bpermute_b32 v1, v2, v1
.LBB9_4:
	s_or_b64 exec, exec, s[0:1]
	s_mov_b32 s7, 0
	v_cmp_eq_u32_e32 vcc, 0, v0
	s_and_saveexec_b64 s[0:1], vcc
	s_cbranch_execz .LBB9_6
; %bb.5:
	s_lshl_b64 s[0:1], s[6:7], 2
	s_add_u32 s0, s2, s0
	s_addc_u32 s1, s3, s1
	v_mov_b32_e32 v0, 0
	s_waitcnt vmcnt(0) lgkmcnt(0)
	global_store_dword v0, v1, s[0:1]
.LBB9_6:
	s_endpgm
	.section	.rodata,"a",@progbits
	.p2align	6, 0x0
	.amdhsa_kernel _Z13reduce_kernelILj192ELN6hipcub20BlockReduceAlgorithmE2EiEvPT1_S3_
		.amdhsa_group_segment_fixed_size 768
		.amdhsa_private_segment_fixed_size 0
		.amdhsa_kernarg_size 16
		.amdhsa_user_sgpr_count 6
		.amdhsa_user_sgpr_private_segment_buffer 1
		.amdhsa_user_sgpr_dispatch_ptr 0
		.amdhsa_user_sgpr_queue_ptr 0
		.amdhsa_user_sgpr_kernarg_segment_ptr 1
		.amdhsa_user_sgpr_dispatch_id 0
		.amdhsa_user_sgpr_flat_scratch_init 0
		.amdhsa_user_sgpr_kernarg_preload_length 0
		.amdhsa_user_sgpr_kernarg_preload_offset 0
		.amdhsa_user_sgpr_private_segment_size 0
		.amdhsa_uses_dynamic_stack 0
		.amdhsa_system_sgpr_private_segment_wavefront_offset 0
		.amdhsa_system_sgpr_workgroup_id_x 1
		.amdhsa_system_sgpr_workgroup_id_y 0
		.amdhsa_system_sgpr_workgroup_id_z 0
		.amdhsa_system_sgpr_workgroup_info 0
		.amdhsa_system_vgpr_workitem_id 0
		.amdhsa_next_free_vgpr 6
		.amdhsa_next_free_sgpr 8
		.amdhsa_accum_offset 8
		.amdhsa_reserve_vcc 1
		.amdhsa_reserve_flat_scratch 0
		.amdhsa_float_round_mode_32 0
		.amdhsa_float_round_mode_16_64 0
		.amdhsa_float_denorm_mode_32 3
		.amdhsa_float_denorm_mode_16_64 3
		.amdhsa_dx10_clamp 1
		.amdhsa_ieee_mode 1
		.amdhsa_fp16_overflow 0
		.amdhsa_tg_split 0
		.amdhsa_exception_fp_ieee_invalid_op 0
		.amdhsa_exception_fp_denorm_src 0
		.amdhsa_exception_fp_ieee_div_zero 0
		.amdhsa_exception_fp_ieee_overflow 0
		.amdhsa_exception_fp_ieee_underflow 0
		.amdhsa_exception_fp_ieee_inexact 0
		.amdhsa_exception_int_div_zero 0
	.end_amdhsa_kernel
	.section	.text._Z13reduce_kernelILj192ELN6hipcub20BlockReduceAlgorithmE2EiEvPT1_S3_,"axG",@progbits,_Z13reduce_kernelILj192ELN6hipcub20BlockReduceAlgorithmE2EiEvPT1_S3_,comdat
.Lfunc_end9:
	.size	_Z13reduce_kernelILj192ELN6hipcub20BlockReduceAlgorithmE2EiEvPT1_S3_, .Lfunc_end9-_Z13reduce_kernelILj192ELN6hipcub20BlockReduceAlgorithmE2EiEvPT1_S3_
                                        ; -- End function
	.section	.AMDGPU.csdata,"",@progbits
; Kernel info:
; codeLenInByte = 312
; NumSgprs: 12
; NumVgprs: 6
; NumAgprs: 0
; TotalNumVgprs: 6
; ScratchSize: 0
; MemoryBound: 0
; FloatMode: 240
; IeeeMode: 1
; LDSByteSize: 768 bytes/workgroup (compile time only)
; SGPRBlocks: 1
; VGPRBlocks: 0
; NumSGPRsForWavesPerEU: 12
; NumVGPRsForWavesPerEU: 6
; AccumOffset: 8
; Occupancy: 8
; WaveLimiterHint : 0
; COMPUTE_PGM_RSRC2:SCRATCH_EN: 0
; COMPUTE_PGM_RSRC2:USER_SGPR: 6
; COMPUTE_PGM_RSRC2:TRAP_HANDLER: 0
; COMPUTE_PGM_RSRC2:TGID_X_EN: 1
; COMPUTE_PGM_RSRC2:TGID_Y_EN: 0
; COMPUTE_PGM_RSRC2:TGID_Z_EN: 0
; COMPUTE_PGM_RSRC2:TIDIG_COMP_CNT: 0
; COMPUTE_PGM_RSRC3_GFX90A:ACCUM_OFFSET: 1
; COMPUTE_PGM_RSRC3_GFX90A:TG_SPLIT: 0
	.section	.text._Z13reduce_kernelILj128ELN6hipcub20BlockReduceAlgorithmE2EiEvPT1_S3_,"axG",@progbits,_Z13reduce_kernelILj128ELN6hipcub20BlockReduceAlgorithmE2EiEvPT1_S3_,comdat
	.protected	_Z13reduce_kernelILj128ELN6hipcub20BlockReduceAlgorithmE2EiEvPT1_S3_ ; -- Begin function _Z13reduce_kernelILj128ELN6hipcub20BlockReduceAlgorithmE2EiEvPT1_S3_
	.globl	_Z13reduce_kernelILj128ELN6hipcub20BlockReduceAlgorithmE2EiEvPT1_S3_
	.p2align	8
	.type	_Z13reduce_kernelILj128ELN6hipcub20BlockReduceAlgorithmE2EiEvPT1_S3_,@function
_Z13reduce_kernelILj128ELN6hipcub20BlockReduceAlgorithmE2EiEvPT1_S3_: ; @_Z13reduce_kernelILj128ELN6hipcub20BlockReduceAlgorithmE2EiEvPT1_S3_
; %bb.0:
	s_load_dwordx4 s[0:3], s[4:5], 0x0
	v_lshl_or_b32 v2, s6, 7, v0
	v_mov_b32_e32 v3, 0
	v_lshlrev_b64 v[2:3], 2, v[2:3]
	s_waitcnt lgkmcnt(0)
	v_mov_b32_e32 v1, s1
	v_add_co_u32_e32 v2, vcc, s0, v2
	v_addc_co_u32_e32 v3, vcc, v1, v3, vcc
	global_load_dword v1, v[2:3], off
	v_cmp_lt_u32_e32 vcc, 63, v0
	v_lshlrev_b32_e32 v2, 2, v0
	s_and_saveexec_b64 s[0:1], vcc
	s_cbranch_execz .LBB10_2
; %bb.1:
	s_waitcnt vmcnt(0)
	ds_write_b32 v2, v1
.LBB10_2:
	s_or_b64 exec, exec, s[0:1]
	v_cmp_gt_u32_e32 vcc, 64, v0
	s_waitcnt lgkmcnt(0)
	s_barrier
	s_and_saveexec_b64 s[0:1], vcc
	s_cbranch_execz .LBB10_4
; %bb.3:
	ds_read_b32 v2, v2 offset:256
	v_mbcnt_lo_u32_b32 v3, -1, 0
	v_bfrev_b32_e32 v4, 0.5
	v_mbcnt_hi_u32_b32 v3, -1, v3
	s_waitcnt vmcnt(0) lgkmcnt(0)
	v_add_u32_e32 v1, v2, v1
	s_nop 1
	v_mov_b32_dpp v2, v1 quad_perm:[1,0,3,2] row_mask:0xf bank_mask:0xf
	v_add_u32_e32 v1, v2, v1
	s_nop 1
	v_mov_b32_dpp v2, v1 quad_perm:[2,3,0,1] row_mask:0xf bank_mask:0xf
	v_add_u32_e32 v1, v1, v2
	s_nop 1
	v_mov_b32_dpp v2, v1 row_ror:4 row_mask:0xf bank_mask:0xf
	v_add_u32_e32 v1, v1, v2
	s_nop 1
	v_mov_b32_dpp v2, v1 row_ror:8 row_mask:0xf bank_mask:0xf
	v_add_u32_e32 v1, v1, v2
	s_nop 1
	v_mov_b32_dpp v2, v1 row_bcast:15 row_mask:0xf bank_mask:0xf
	v_add_u32_e32 v1, v1, v2
	s_nop 1
	v_mov_b32_dpp v2, v1 row_bcast:31 row_mask:0xf bank_mask:0xf
	v_add_u32_e32 v1, v1, v2
	v_lshl_or_b32 v2, v3, 2, v4
	ds_bpermute_b32 v1, v2, v1
.LBB10_4:
	s_or_b64 exec, exec, s[0:1]
	s_mov_b32 s7, 0
	v_cmp_eq_u32_e32 vcc, 0, v0
	s_and_saveexec_b64 s[0:1], vcc
	s_cbranch_execz .LBB10_6
; %bb.5:
	s_lshl_b64 s[0:1], s[6:7], 2
	s_add_u32 s0, s2, s0
	s_addc_u32 s1, s3, s1
	v_mov_b32_e32 v0, 0
	s_waitcnt vmcnt(0) lgkmcnt(0)
	global_store_dword v0, v1, s[0:1]
.LBB10_6:
	s_endpgm
	.section	.rodata,"a",@progbits
	.p2align	6, 0x0
	.amdhsa_kernel _Z13reduce_kernelILj128ELN6hipcub20BlockReduceAlgorithmE2EiEvPT1_S3_
		.amdhsa_group_segment_fixed_size 512
		.amdhsa_private_segment_fixed_size 0
		.amdhsa_kernarg_size 16
		.amdhsa_user_sgpr_count 6
		.amdhsa_user_sgpr_private_segment_buffer 1
		.amdhsa_user_sgpr_dispatch_ptr 0
		.amdhsa_user_sgpr_queue_ptr 0
		.amdhsa_user_sgpr_kernarg_segment_ptr 1
		.amdhsa_user_sgpr_dispatch_id 0
		.amdhsa_user_sgpr_flat_scratch_init 0
		.amdhsa_user_sgpr_kernarg_preload_length 0
		.amdhsa_user_sgpr_kernarg_preload_offset 0
		.amdhsa_user_sgpr_private_segment_size 0
		.amdhsa_uses_dynamic_stack 0
		.amdhsa_system_sgpr_private_segment_wavefront_offset 0
		.amdhsa_system_sgpr_workgroup_id_x 1
		.amdhsa_system_sgpr_workgroup_id_y 0
		.amdhsa_system_sgpr_workgroup_id_z 0
		.amdhsa_system_sgpr_workgroup_info 0
		.amdhsa_system_vgpr_workitem_id 0
		.amdhsa_next_free_vgpr 5
		.amdhsa_next_free_sgpr 8
		.amdhsa_accum_offset 8
		.amdhsa_reserve_vcc 1
		.amdhsa_reserve_flat_scratch 0
		.amdhsa_float_round_mode_32 0
		.amdhsa_float_round_mode_16_64 0
		.amdhsa_float_denorm_mode_32 3
		.amdhsa_float_denorm_mode_16_64 3
		.amdhsa_dx10_clamp 1
		.amdhsa_ieee_mode 1
		.amdhsa_fp16_overflow 0
		.amdhsa_tg_split 0
		.amdhsa_exception_fp_ieee_invalid_op 0
		.amdhsa_exception_fp_denorm_src 0
		.amdhsa_exception_fp_ieee_div_zero 0
		.amdhsa_exception_fp_ieee_overflow 0
		.amdhsa_exception_fp_ieee_underflow 0
		.amdhsa_exception_fp_ieee_inexact 0
		.amdhsa_exception_int_div_zero 0
	.end_amdhsa_kernel
	.section	.text._Z13reduce_kernelILj128ELN6hipcub20BlockReduceAlgorithmE2EiEvPT1_S3_,"axG",@progbits,_Z13reduce_kernelILj128ELN6hipcub20BlockReduceAlgorithmE2EiEvPT1_S3_,comdat
.Lfunc_end10:
	.size	_Z13reduce_kernelILj128ELN6hipcub20BlockReduceAlgorithmE2EiEvPT1_S3_, .Lfunc_end10-_Z13reduce_kernelILj128ELN6hipcub20BlockReduceAlgorithmE2EiEvPT1_S3_
                                        ; -- End function
	.section	.AMDGPU.csdata,"",@progbits
; Kernel info:
; codeLenInByte = 304
; NumSgprs: 12
; NumVgprs: 5
; NumAgprs: 0
; TotalNumVgprs: 5
; ScratchSize: 0
; MemoryBound: 0
; FloatMode: 240
; IeeeMode: 1
; LDSByteSize: 512 bytes/workgroup (compile time only)
; SGPRBlocks: 1
; VGPRBlocks: 0
; NumSGPRsForWavesPerEU: 12
; NumVGPRsForWavesPerEU: 5
; AccumOffset: 8
; Occupancy: 8
; WaveLimiterHint : 0
; COMPUTE_PGM_RSRC2:SCRATCH_EN: 0
; COMPUTE_PGM_RSRC2:USER_SGPR: 6
; COMPUTE_PGM_RSRC2:TRAP_HANDLER: 0
; COMPUTE_PGM_RSRC2:TGID_X_EN: 1
; COMPUTE_PGM_RSRC2:TGID_Y_EN: 0
; COMPUTE_PGM_RSRC2:TGID_Z_EN: 0
; COMPUTE_PGM_RSRC2:TIDIG_COMP_CNT: 0
; COMPUTE_PGM_RSRC3_GFX90A:ACCUM_OFFSET: 1
; COMPUTE_PGM_RSRC3_GFX90A:TG_SPLIT: 0
	.section	.text._Z13reduce_kernelILj64ELN6hipcub20BlockReduceAlgorithmE2EiEvPT1_S3_,"axG",@progbits,_Z13reduce_kernelILj64ELN6hipcub20BlockReduceAlgorithmE2EiEvPT1_S3_,comdat
	.protected	_Z13reduce_kernelILj64ELN6hipcub20BlockReduceAlgorithmE2EiEvPT1_S3_ ; -- Begin function _Z13reduce_kernelILj64ELN6hipcub20BlockReduceAlgorithmE2EiEvPT1_S3_
	.globl	_Z13reduce_kernelILj64ELN6hipcub20BlockReduceAlgorithmE2EiEvPT1_S3_
	.p2align	8
	.type	_Z13reduce_kernelILj64ELN6hipcub20BlockReduceAlgorithmE2EiEvPT1_S3_,@function
_Z13reduce_kernelILj64ELN6hipcub20BlockReduceAlgorithmE2EiEvPT1_S3_: ; @_Z13reduce_kernelILj64ELN6hipcub20BlockReduceAlgorithmE2EiEvPT1_S3_
; %bb.0:
	s_load_dwordx4 s[0:3], s[4:5], 0x0
	v_lshl_or_b32 v2, s6, 6, v0
	v_mov_b32_e32 v3, 0
	v_lshlrev_b64 v[2:3], 2, v[2:3]
	s_waitcnt lgkmcnt(0)
	v_mov_b32_e32 v1, s1
	v_add_co_u32_e32 v2, vcc, s0, v2
	v_addc_co_u32_e32 v3, vcc, v1, v3, vcc
	global_load_dword v1, v[2:3], off
	v_cmp_lt_u32_e32 vcc, 63, v0
	s_and_saveexec_b64 s[0:1], vcc
	s_cbranch_execz .LBB11_2
; %bb.1:
	v_lshlrev_b32_e32 v2, 2, v0
	s_waitcnt vmcnt(0)
	ds_write_b32 v2, v1
.LBB11_2:
	s_or_b64 exec, exec, s[0:1]
	v_cmp_gt_u32_e32 vcc, 64, v0
	s_waitcnt lgkmcnt(0)
	; wave barrier
	s_waitcnt lgkmcnt(0)
	s_and_saveexec_b64 s[0:1], vcc
	s_cbranch_execz .LBB11_4
; %bb.3:
	s_waitcnt vmcnt(0)
	v_mov_b32_dpp v2, v1 quad_perm:[1,0,3,2] row_mask:0xf bank_mask:0xf
	v_add_u32_e32 v1, v2, v1
	v_bfrev_b32_e32 v3, 0.5
	s_nop 0
	v_mov_b32_dpp v2, v1 quad_perm:[2,3,0,1] row_mask:0xf bank_mask:0xf
	v_add_u32_e32 v1, v1, v2
	s_nop 1
	v_mov_b32_dpp v2, v1 row_ror:4 row_mask:0xf bank_mask:0xf
	v_add_u32_e32 v1, v1, v2
	s_nop 1
	v_mov_b32_dpp v2, v1 row_ror:8 row_mask:0xf bank_mask:0xf
	v_add_u32_e32 v1, v1, v2
	s_nop 1
	v_mov_b32_dpp v2, v1 row_bcast:15 row_mask:0xf bank_mask:0xf
	v_add_u32_e32 v1, v1, v2
	s_nop 1
	v_mov_b32_dpp v2, v1 row_bcast:31 row_mask:0xf bank_mask:0xf
	v_add_u32_e32 v1, v1, v2
	v_mbcnt_lo_u32_b32 v2, -1, 0
	v_mbcnt_hi_u32_b32 v2, -1, v2
	v_lshl_or_b32 v2, v2, 2, v3
	ds_bpermute_b32 v1, v2, v1
.LBB11_4:
	s_or_b64 exec, exec, s[0:1]
	s_mov_b32 s7, 0
	v_cmp_eq_u32_e32 vcc, 0, v0
	s_and_saveexec_b64 s[0:1], vcc
	s_cbranch_execz .LBB11_6
; %bb.5:
	s_lshl_b64 s[0:1], s[6:7], 2
	s_add_u32 s0, s2, s0
	s_addc_u32 s1, s3, s1
	v_mov_b32_e32 v0, 0
	s_waitcnt vmcnt(0) lgkmcnt(0)
	global_store_dword v0, v1, s[0:1]
.LBB11_6:
	s_endpgm
	.section	.rodata,"a",@progbits
	.p2align	6, 0x0
	.amdhsa_kernel _Z13reduce_kernelILj64ELN6hipcub20BlockReduceAlgorithmE2EiEvPT1_S3_
		.amdhsa_group_segment_fixed_size 256
		.amdhsa_private_segment_fixed_size 0
		.amdhsa_kernarg_size 16
		.amdhsa_user_sgpr_count 6
		.amdhsa_user_sgpr_private_segment_buffer 1
		.amdhsa_user_sgpr_dispatch_ptr 0
		.amdhsa_user_sgpr_queue_ptr 0
		.amdhsa_user_sgpr_kernarg_segment_ptr 1
		.amdhsa_user_sgpr_dispatch_id 0
		.amdhsa_user_sgpr_flat_scratch_init 0
		.amdhsa_user_sgpr_kernarg_preload_length 0
		.amdhsa_user_sgpr_kernarg_preload_offset 0
		.amdhsa_user_sgpr_private_segment_size 0
		.amdhsa_uses_dynamic_stack 0
		.amdhsa_system_sgpr_private_segment_wavefront_offset 0
		.amdhsa_system_sgpr_workgroup_id_x 1
		.amdhsa_system_sgpr_workgroup_id_y 0
		.amdhsa_system_sgpr_workgroup_id_z 0
		.amdhsa_system_sgpr_workgroup_info 0
		.amdhsa_system_vgpr_workitem_id 0
		.amdhsa_next_free_vgpr 4
		.amdhsa_next_free_sgpr 8
		.amdhsa_accum_offset 4
		.amdhsa_reserve_vcc 1
		.amdhsa_reserve_flat_scratch 0
		.amdhsa_float_round_mode_32 0
		.amdhsa_float_round_mode_16_64 0
		.amdhsa_float_denorm_mode_32 3
		.amdhsa_float_denorm_mode_16_64 3
		.amdhsa_dx10_clamp 1
		.amdhsa_ieee_mode 1
		.amdhsa_fp16_overflow 0
		.amdhsa_tg_split 0
		.amdhsa_exception_fp_ieee_invalid_op 0
		.amdhsa_exception_fp_denorm_src 0
		.amdhsa_exception_fp_ieee_div_zero 0
		.amdhsa_exception_fp_ieee_overflow 0
		.amdhsa_exception_fp_ieee_underflow 0
		.amdhsa_exception_fp_ieee_inexact 0
		.amdhsa_exception_int_div_zero 0
	.end_amdhsa_kernel
	.section	.text._Z13reduce_kernelILj64ELN6hipcub20BlockReduceAlgorithmE2EiEvPT1_S3_,"axG",@progbits,_Z13reduce_kernelILj64ELN6hipcub20BlockReduceAlgorithmE2EiEvPT1_S3_,comdat
.Lfunc_end11:
	.size	_Z13reduce_kernelILj64ELN6hipcub20BlockReduceAlgorithmE2EiEvPT1_S3_, .Lfunc_end11-_Z13reduce_kernelILj64ELN6hipcub20BlockReduceAlgorithmE2EiEvPT1_S3_
                                        ; -- End function
	.section	.AMDGPU.csdata,"",@progbits
; Kernel info:
; codeLenInByte = 288
; NumSgprs: 12
; NumVgprs: 4
; NumAgprs: 0
; TotalNumVgprs: 4
; ScratchSize: 0
; MemoryBound: 0
; FloatMode: 240
; IeeeMode: 1
; LDSByteSize: 256 bytes/workgroup (compile time only)
; SGPRBlocks: 1
; VGPRBlocks: 0
; NumSGPRsForWavesPerEU: 12
; NumVGPRsForWavesPerEU: 4
; AccumOffset: 4
; Occupancy: 8
; WaveLimiterHint : 0
; COMPUTE_PGM_RSRC2:SCRATCH_EN: 0
; COMPUTE_PGM_RSRC2:USER_SGPR: 6
; COMPUTE_PGM_RSRC2:TRAP_HANDLER: 0
; COMPUTE_PGM_RSRC2:TGID_X_EN: 1
; COMPUTE_PGM_RSRC2:TGID_Y_EN: 0
; COMPUTE_PGM_RSRC2:TGID_Z_EN: 0
; COMPUTE_PGM_RSRC2:TIDIG_COMP_CNT: 0
; COMPUTE_PGM_RSRC3_GFX90A:ACCUM_OFFSET: 0
; COMPUTE_PGM_RSRC3_GFX90A:TG_SPLIT: 0
	.section	.text._Z13reduce_kernelILj377ELN6hipcub20BlockReduceAlgorithmE1EhEvPT1_S3_,"axG",@progbits,_Z13reduce_kernelILj377ELN6hipcub20BlockReduceAlgorithmE1EhEvPT1_S3_,comdat
	.protected	_Z13reduce_kernelILj377ELN6hipcub20BlockReduceAlgorithmE1EhEvPT1_S3_ ; -- Begin function _Z13reduce_kernelILj377ELN6hipcub20BlockReduceAlgorithmE1EhEvPT1_S3_
	.globl	_Z13reduce_kernelILj377ELN6hipcub20BlockReduceAlgorithmE1EhEvPT1_S3_
	.p2align	8
	.type	_Z13reduce_kernelILj377ELN6hipcub20BlockReduceAlgorithmE1EhEvPT1_S3_,@function
_Z13reduce_kernelILj377ELN6hipcub20BlockReduceAlgorithmE1EhEvPT1_S3_: ; @_Z13reduce_kernelILj377ELN6hipcub20BlockReduceAlgorithmE1EhEvPT1_S3_
; %bb.0:
	s_load_dwordx4 s[0:3], s[4:5], 0x0
	s_mul_i32 s4, s6, 0x179
	v_add_u32_e32 v1, s4, v0
	v_cmp_gt_u32_e32 vcc, 63, v0
	s_waitcnt lgkmcnt(0)
	global_load_ubyte v1, v1, s[0:1]
	s_waitcnt vmcnt(0)
	ds_write_b8 v0, v1
	s_waitcnt lgkmcnt(0)
	s_barrier
	s_and_saveexec_b64 s[4:5], vcc
	s_cbranch_execnz .LBB12_3
; %bb.1:
	s_or_b64 exec, exec, s[4:5]
	v_cmp_eq_u32_e32 vcc, 0, v0
	s_and_saveexec_b64 s[0:1], vcc
	s_cbranch_execnz .LBB12_6
.LBB12_2:
	s_endpgm
.LBB12_3:
	v_mul_u32_u24_e32 v2, 6, v0
	ds_read_u8 v1, v2
	ds_read_u8 v3, v2 offset:1
	ds_read_u8 v4, v2 offset:2
	ds_read_u8 v5, v2 offset:3
	ds_read_u8 v6, v2 offset:4
	v_cmp_ne_u32_e32 vcc, 62, v0
	s_waitcnt lgkmcnt(3)
	v_add_u16_e32 v1, v3, v1
	s_waitcnt lgkmcnt(2)
	v_add_u16_e32 v1, v1, v4
	;; [unrolled: 2-line block ×4, first 2 shown]
	s_and_saveexec_b64 s[0:1], vcc
	s_cbranch_execz .LBB12_5
; %bb.4:
	ds_read_u8 v2, v2 offset:5
	s_waitcnt lgkmcnt(0)
	v_add_u16_e32 v1, v2, v1
.LBB12_5:
	s_or_b64 exec, exec, s[0:1]
	v_mbcnt_lo_u32_b32 v2, -1, 0
	v_mbcnt_hi_u32_b32 v2, -1, v2
	v_and_b32_e32 v3, 63, v2
	v_cmp_ne_u32_e32 vcc, 63, v3
	v_addc_co_u32_e32 v5, vcc, 0, v2, vcc
	v_and_b32_e32 v4, 0xff, v1
	v_lshlrev_b32_e32 v5, 2, v5
	ds_bpermute_b32 v5, v5, v4
	v_add_u32_e32 v6, 1, v2
	v_cmp_gt_u32_e64 s[0:1], 62, v3
	v_cmp_gt_u32_e32 vcc, 63, v6
	v_cndmask_b32_e64 v6, 0, 1, s[0:1]
	s_waitcnt lgkmcnt(0)
	v_add_u16_e32 v5, v1, v5
	v_and_b32_e32 v7, 0xff, v5
	v_lshlrev_b32_e32 v6, 1, v6
	v_cndmask_b32_e32 v4, v4, v7, vcc
	v_add_lshl_u32 v6, v6, v2, 2
	ds_bpermute_b32 v6, v6, v4
	v_cndmask_b32_e32 v5, v1, v5, vcc
	v_add_u32_e32 v7, 2, v2
	v_cmp_gt_u32_e64 s[0:1], 60, v3
	v_cmp_gt_u32_e32 vcc, 63, v7
	s_waitcnt lgkmcnt(0)
	v_add_u16_e32 v6, v5, v6
	v_cndmask_b32_e64 v7, 0, 1, s[0:1]
	v_and_b32_e32 v8, 0xff, v6
	v_lshlrev_b32_e32 v7, 2, v7
	v_cndmask_b32_e32 v4, v4, v8, vcc
	v_add_lshl_u32 v7, v7, v2, 2
	ds_bpermute_b32 v7, v7, v4
	v_cndmask_b32_e32 v5, v5, v6, vcc
	v_add_u32_e32 v6, 4, v2
	v_cmp_gt_u32_e64 s[0:1], 56, v3
	v_cmp_gt_u32_e32 vcc, 63, v6
	s_waitcnt lgkmcnt(0)
	v_add_u16_e32 v7, v5, v7
	v_cndmask_b32_e64 v6, 0, 1, s[0:1]
	;; [unrolled: 12-line block ×3, first 2 shown]
	v_and_b32_e32 v8, 0xff, v6
	v_lshlrev_b32_e32 v7, 4, v7
	v_cndmask_b32_e32 v4, v4, v8, vcc
	v_add_lshl_u32 v7, v7, v2, 2
	ds_bpermute_b32 v7, v7, v4
	v_cndmask_b32_e32 v5, v5, v6, vcc
	v_cmp_gt_u32_e64 s[0:1], 32, v3
	v_add_u32_e32 v6, 16, v2
	v_cndmask_b32_e64 v3, 0, 1, s[0:1]
	s_waitcnt lgkmcnt(0)
	v_add_u16_e32 v7, v5, v7
	v_and_b32_e32 v8, 0xff, v7
	v_cmp_gt_u32_e32 vcc, 63, v6
	v_lshlrev_b32_e32 v3, 5, v3
	v_cndmask_b32_e32 v4, v4, v8, vcc
	v_add_lshl_u32 v3, v3, v2, 2
	ds_bpermute_b32 v3, v3, v4
	v_add_u32_e32 v2, 32, v2
	v_cndmask_b32_e32 v4, v5, v7, vcc
	v_cmp_gt_u32_e32 vcc, 63, v2
	s_movk_i32 s0, 0x5e
	s_waitcnt lgkmcnt(0)
	v_cndmask_b32_e32 v3, 0, v3, vcc
	v_add_u16_e32 v3, v4, v3
	v_cmp_gt_u32_e32 vcc, s0, v2
	v_cndmask_b32_e32 v1, v1, v3, vcc
	s_or_b64 exec, exec, s[4:5]
	v_cmp_eq_u32_e32 vcc, 0, v0
	s_and_saveexec_b64 s[0:1], vcc
	s_cbranch_execz .LBB12_2
.LBB12_6:
	v_mov_b32_e32 v0, s6
	global_store_byte v0, v1, s[2:3]
	s_endpgm
	.section	.rodata,"a",@progbits
	.p2align	6, 0x0
	.amdhsa_kernel _Z13reduce_kernelILj377ELN6hipcub20BlockReduceAlgorithmE1EhEvPT1_S3_
		.amdhsa_group_segment_fixed_size 377
		.amdhsa_private_segment_fixed_size 0
		.amdhsa_kernarg_size 16
		.amdhsa_user_sgpr_count 6
		.amdhsa_user_sgpr_private_segment_buffer 1
		.amdhsa_user_sgpr_dispatch_ptr 0
		.amdhsa_user_sgpr_queue_ptr 0
		.amdhsa_user_sgpr_kernarg_segment_ptr 1
		.amdhsa_user_sgpr_dispatch_id 0
		.amdhsa_user_sgpr_flat_scratch_init 0
		.amdhsa_user_sgpr_kernarg_preload_length 0
		.amdhsa_user_sgpr_kernarg_preload_offset 0
		.amdhsa_user_sgpr_private_segment_size 0
		.amdhsa_uses_dynamic_stack 0
		.amdhsa_system_sgpr_private_segment_wavefront_offset 0
		.amdhsa_system_sgpr_workgroup_id_x 1
		.amdhsa_system_sgpr_workgroup_id_y 0
		.amdhsa_system_sgpr_workgroup_id_z 0
		.amdhsa_system_sgpr_workgroup_info 0
		.amdhsa_system_vgpr_workitem_id 0
		.amdhsa_next_free_vgpr 9
		.amdhsa_next_free_sgpr 7
		.amdhsa_accum_offset 12
		.amdhsa_reserve_vcc 1
		.amdhsa_reserve_flat_scratch 0
		.amdhsa_float_round_mode_32 0
		.amdhsa_float_round_mode_16_64 0
		.amdhsa_float_denorm_mode_32 3
		.amdhsa_float_denorm_mode_16_64 3
		.amdhsa_dx10_clamp 1
		.amdhsa_ieee_mode 1
		.amdhsa_fp16_overflow 0
		.amdhsa_tg_split 0
		.amdhsa_exception_fp_ieee_invalid_op 0
		.amdhsa_exception_fp_denorm_src 0
		.amdhsa_exception_fp_ieee_div_zero 0
		.amdhsa_exception_fp_ieee_overflow 0
		.amdhsa_exception_fp_ieee_underflow 0
		.amdhsa_exception_fp_ieee_inexact 0
		.amdhsa_exception_int_div_zero 0
	.end_amdhsa_kernel
	.section	.text._Z13reduce_kernelILj377ELN6hipcub20BlockReduceAlgorithmE1EhEvPT1_S3_,"axG",@progbits,_Z13reduce_kernelILj377ELN6hipcub20BlockReduceAlgorithmE1EhEvPT1_S3_,comdat
.Lfunc_end12:
	.size	_Z13reduce_kernelILj377ELN6hipcub20BlockReduceAlgorithmE1EhEvPT1_S3_, .Lfunc_end12-_Z13reduce_kernelILj377ELN6hipcub20BlockReduceAlgorithmE1EhEvPT1_S3_
                                        ; -- End function
	.section	.AMDGPU.csdata,"",@progbits
; Kernel info:
; codeLenInByte = 644
; NumSgprs: 11
; NumVgprs: 9
; NumAgprs: 0
; TotalNumVgprs: 9
; ScratchSize: 0
; MemoryBound: 0
; FloatMode: 240
; IeeeMode: 1
; LDSByteSize: 377 bytes/workgroup (compile time only)
; SGPRBlocks: 1
; VGPRBlocks: 1
; NumSGPRsForWavesPerEU: 11
; NumVGPRsForWavesPerEU: 9
; AccumOffset: 12
; Occupancy: 8
; WaveLimiterHint : 0
; COMPUTE_PGM_RSRC2:SCRATCH_EN: 0
; COMPUTE_PGM_RSRC2:USER_SGPR: 6
; COMPUTE_PGM_RSRC2:TRAP_HANDLER: 0
; COMPUTE_PGM_RSRC2:TGID_X_EN: 1
; COMPUTE_PGM_RSRC2:TGID_Y_EN: 0
; COMPUTE_PGM_RSRC2:TGID_Z_EN: 0
; COMPUTE_PGM_RSRC2:TIDIG_COMP_CNT: 0
; COMPUTE_PGM_RSRC3_GFX90A:ACCUM_OFFSET: 2
; COMPUTE_PGM_RSRC3_GFX90A:TG_SPLIT: 0
	.section	.text._Z13reduce_kernelILj377ELN6hipcub20BlockReduceAlgorithmE1EiEvPT1_S3_,"axG",@progbits,_Z13reduce_kernelILj377ELN6hipcub20BlockReduceAlgorithmE1EiEvPT1_S3_,comdat
	.protected	_Z13reduce_kernelILj377ELN6hipcub20BlockReduceAlgorithmE1EiEvPT1_S3_ ; -- Begin function _Z13reduce_kernelILj377ELN6hipcub20BlockReduceAlgorithmE1EiEvPT1_S3_
	.globl	_Z13reduce_kernelILj377ELN6hipcub20BlockReduceAlgorithmE1EiEvPT1_S3_
	.p2align	8
	.type	_Z13reduce_kernelILj377ELN6hipcub20BlockReduceAlgorithmE1EiEvPT1_S3_,@function
_Z13reduce_kernelILj377ELN6hipcub20BlockReduceAlgorithmE1EiEvPT1_S3_: ; @_Z13reduce_kernelILj377ELN6hipcub20BlockReduceAlgorithmE1EiEvPT1_S3_
; %bb.0:
	s_load_dwordx4 s[0:3], s[4:5], 0x0
	s_mul_i32 s4, s6, 0x179
	v_add_u32_e32 v2, s4, v0
	v_mov_b32_e32 v3, 0
	v_lshlrev_b64 v[2:3], 2, v[2:3]
	s_waitcnt lgkmcnt(0)
	v_mov_b32_e32 v1, s1
	v_add_co_u32_e32 v2, vcc, s0, v2
	v_addc_co_u32_e32 v3, vcc, v1, v3, vcc
	global_load_dword v1, v[2:3], off
	v_lshlrev_b32_e32 v2, 2, v0
	v_cmp_gt_u32_e32 vcc, 63, v0
	s_waitcnt vmcnt(0)
	ds_write_b32 v2, v1
	s_waitcnt lgkmcnt(0)
	s_barrier
	s_and_saveexec_b64 s[0:1], vcc
	s_cbranch_execz .LBB13_4
; %bb.1:
	v_mul_u32_u24_e32 v1, 6, v0
	v_lshlrev_b32_e32 v2, 2, v1
	ds_read_b32 v1, v2 offset:16
	ds_read2_b32 v[4:5], v2 offset0:2 offset1:3
	ds_read2_b32 v[6:7], v2 offset1:1
	v_cmp_ne_u32_e32 vcc, 62, v0
	s_waitcnt lgkmcnt(0)
	v_add_u32_e32 v3, v7, v5
	v_add_u32_e32 v4, v6, v4
	v_add3_u32 v1, v4, v3, v1
	s_and_saveexec_b64 s[4:5], vcc
	s_cbranch_execz .LBB13_3
; %bb.2:
	ds_read_b32 v2, v2 offset:20
	s_waitcnt lgkmcnt(0)
	v_add_u32_e32 v1, v2, v1
.LBB13_3:
	s_or_b64 exec, exec, s[4:5]
	v_mbcnt_lo_u32_b32 v2, -1, 0
	v_mbcnt_hi_u32_b32 v2, -1, v2
	v_and_b32_e32 v3, 63, v2
	v_cmp_ne_u32_e32 vcc, 63, v3
	v_addc_co_u32_e32 v4, vcc, 0, v2, vcc
	v_lshlrev_b32_e32 v4, 2, v4
	ds_bpermute_b32 v4, v4, v1
	v_add_u32_e32 v5, 1, v2
	v_cmp_gt_u32_e32 vcc, 63, v5
	v_add_u32_e32 v5, 2, v2
	s_waitcnt lgkmcnt(0)
	v_cndmask_b32_e32 v4, 0, v4, vcc
	v_cmp_gt_u32_e32 vcc, 62, v3
	v_add_u32_e32 v1, v4, v1
	v_cndmask_b32_e64 v4, 0, 1, vcc
	v_lshlrev_b32_e32 v4, 1, v4
	v_add_lshl_u32 v4, v4, v2, 2
	ds_bpermute_b32 v4, v4, v1
	v_cmp_gt_u32_e32 vcc, 63, v5
	v_add_u32_e32 v5, 4, v2
	s_waitcnt lgkmcnt(0)
	v_cndmask_b32_e32 v4, 0, v4, vcc
	v_cmp_gt_u32_e32 vcc, 60, v3
	v_add_u32_e32 v1, v1, v4
	v_cndmask_b32_e64 v4, 0, 1, vcc
	v_lshlrev_b32_e32 v4, 2, v4
	v_add_lshl_u32 v4, v4, v2, 2
	ds_bpermute_b32 v4, v4, v1
	;; [unrolled: 10-line block ×4, first 2 shown]
	v_cmp_gt_u32_e32 vcc, 63, v5
	s_waitcnt lgkmcnt(0)
	v_cndmask_b32_e32 v4, 0, v4, vcc
	v_cmp_gt_u32_e32 vcc, 32, v3
	v_cndmask_b32_e64 v3, 0, 1, vcc
	v_lshlrev_b32_e32 v3, 5, v3
	v_add_u32_e32 v1, v1, v4
	v_add_lshl_u32 v3, v3, v2, 2
	ds_bpermute_b32 v3, v3, v1
	v_add_u32_e32 v2, 32, v2
	v_cmp_gt_u32_e32 vcc, 63, v2
	s_waitcnt lgkmcnt(0)
	v_cndmask_b32_e32 v2, 0, v3, vcc
	v_add_u32_e32 v1, v1, v2
.LBB13_4:
	s_or_b64 exec, exec, s[0:1]
	s_mov_b32 s7, 0
	v_cmp_eq_u32_e32 vcc, 0, v0
	s_and_saveexec_b64 s[0:1], vcc
	s_cbranch_execz .LBB13_6
; %bb.5:
	s_lshl_b64 s[0:1], s[6:7], 2
	s_add_u32 s0, s2, s0
	s_addc_u32 s1, s3, s1
	v_mov_b32_e32 v0, 0
	global_store_dword v0, v1, s[0:1]
.LBB13_6:
	s_endpgm
	.section	.rodata,"a",@progbits
	.p2align	6, 0x0
	.amdhsa_kernel _Z13reduce_kernelILj377ELN6hipcub20BlockReduceAlgorithmE1EiEvPT1_S3_
		.amdhsa_group_segment_fixed_size 1508
		.amdhsa_private_segment_fixed_size 0
		.amdhsa_kernarg_size 16
		.amdhsa_user_sgpr_count 6
		.amdhsa_user_sgpr_private_segment_buffer 1
		.amdhsa_user_sgpr_dispatch_ptr 0
		.amdhsa_user_sgpr_queue_ptr 0
		.amdhsa_user_sgpr_kernarg_segment_ptr 1
		.amdhsa_user_sgpr_dispatch_id 0
		.amdhsa_user_sgpr_flat_scratch_init 0
		.amdhsa_user_sgpr_kernarg_preload_length 0
		.amdhsa_user_sgpr_kernarg_preload_offset 0
		.amdhsa_user_sgpr_private_segment_size 0
		.amdhsa_uses_dynamic_stack 0
		.amdhsa_system_sgpr_private_segment_wavefront_offset 0
		.amdhsa_system_sgpr_workgroup_id_x 1
		.amdhsa_system_sgpr_workgroup_id_y 0
		.amdhsa_system_sgpr_workgroup_id_z 0
		.amdhsa_system_sgpr_workgroup_info 0
		.amdhsa_system_vgpr_workitem_id 0
		.amdhsa_next_free_vgpr 8
		.amdhsa_next_free_sgpr 8
		.amdhsa_accum_offset 8
		.amdhsa_reserve_vcc 1
		.amdhsa_reserve_flat_scratch 0
		.amdhsa_float_round_mode_32 0
		.amdhsa_float_round_mode_16_64 0
		.amdhsa_float_denorm_mode_32 3
		.amdhsa_float_denorm_mode_16_64 3
		.amdhsa_dx10_clamp 1
		.amdhsa_ieee_mode 1
		.amdhsa_fp16_overflow 0
		.amdhsa_tg_split 0
		.amdhsa_exception_fp_ieee_invalid_op 0
		.amdhsa_exception_fp_denorm_src 0
		.amdhsa_exception_fp_ieee_div_zero 0
		.amdhsa_exception_fp_ieee_overflow 0
		.amdhsa_exception_fp_ieee_underflow 0
		.amdhsa_exception_fp_ieee_inexact 0
		.amdhsa_exception_int_div_zero 0
	.end_amdhsa_kernel
	.section	.text._Z13reduce_kernelILj377ELN6hipcub20BlockReduceAlgorithmE1EiEvPT1_S3_,"axG",@progbits,_Z13reduce_kernelILj377ELN6hipcub20BlockReduceAlgorithmE1EiEvPT1_S3_,comdat
.Lfunc_end13:
	.size	_Z13reduce_kernelILj377ELN6hipcub20BlockReduceAlgorithmE1EiEvPT1_S3_, .Lfunc_end13-_Z13reduce_kernelILj377ELN6hipcub20BlockReduceAlgorithmE1EiEvPT1_S3_
                                        ; -- End function
	.section	.AMDGPU.csdata,"",@progbits
; Kernel info:
; codeLenInByte = 544
; NumSgprs: 12
; NumVgprs: 8
; NumAgprs: 0
; TotalNumVgprs: 8
; ScratchSize: 0
; MemoryBound: 0
; FloatMode: 240
; IeeeMode: 1
; LDSByteSize: 1508 bytes/workgroup (compile time only)
; SGPRBlocks: 1
; VGPRBlocks: 0
; NumSGPRsForWavesPerEU: 12
; NumVGPRsForWavesPerEU: 8
; AccumOffset: 8
; Occupancy: 8
; WaveLimiterHint : 0
; COMPUTE_PGM_RSRC2:SCRATCH_EN: 0
; COMPUTE_PGM_RSRC2:USER_SGPR: 6
; COMPUTE_PGM_RSRC2:TRAP_HANDLER: 0
; COMPUTE_PGM_RSRC2:TGID_X_EN: 1
; COMPUTE_PGM_RSRC2:TGID_Y_EN: 0
; COMPUTE_PGM_RSRC2:TGID_Z_EN: 0
; COMPUTE_PGM_RSRC2:TIDIG_COMP_CNT: 0
; COMPUTE_PGM_RSRC3_GFX90A:ACCUM_OFFSET: 1
; COMPUTE_PGM_RSRC3_GFX90A:TG_SPLIT: 0
	.section	.text._Z13reduce_kernelILj255ELN6hipcub20BlockReduceAlgorithmE1EjEvPT1_S3_,"axG",@progbits,_Z13reduce_kernelILj255ELN6hipcub20BlockReduceAlgorithmE1EjEvPT1_S3_,comdat
	.protected	_Z13reduce_kernelILj255ELN6hipcub20BlockReduceAlgorithmE1EjEvPT1_S3_ ; -- Begin function _Z13reduce_kernelILj255ELN6hipcub20BlockReduceAlgorithmE1EjEvPT1_S3_
	.globl	_Z13reduce_kernelILj255ELN6hipcub20BlockReduceAlgorithmE1EjEvPT1_S3_
	.p2align	8
	.type	_Z13reduce_kernelILj255ELN6hipcub20BlockReduceAlgorithmE1EjEvPT1_S3_,@function
_Z13reduce_kernelILj255ELN6hipcub20BlockReduceAlgorithmE1EjEvPT1_S3_: ; @_Z13reduce_kernelILj255ELN6hipcub20BlockReduceAlgorithmE1EjEvPT1_S3_
; %bb.0:
	s_load_dwordx4 s[0:3], s[4:5], 0x0
	s_mul_i32 s4, s6, 0xff
	v_add_u32_e32 v2, s4, v0
	v_mov_b32_e32 v3, 0
	v_lshlrev_b64 v[2:3], 2, v[2:3]
	s_waitcnt lgkmcnt(0)
	v_mov_b32_e32 v1, s1
	v_add_co_u32_e32 v2, vcc, s0, v2
	v_addc_co_u32_e32 v3, vcc, v1, v3, vcc
	global_load_dword v1, v[2:3], off
	s_movk_i32 s4, 0xff
	v_lshlrev_b32_e32 v2, 2, v0
	v_cmp_gt_u32_e32 vcc, 64, v0
	s_waitcnt vmcnt(0)
	ds_write_b32 v2, v1
	s_waitcnt lgkmcnt(0)
	s_barrier
	s_and_saveexec_b64 s[0:1], vcc
	s_cbranch_execz .LBB14_4
; %bb.1:
	v_lshlrev_b32_e32 v2, 4, v0
	ds_read2_b32 v[4:5], v2 offset1:1
	ds_read_b32 v1, v2 offset:8
	v_lshl_or_b32 v3, v0, 2, 3
	v_cmp_gt_u32_e32 vcc, s4, v3
	s_waitcnt lgkmcnt(0)
	v_add3_u32 v1, v5, v4, v1
	s_and_saveexec_b64 s[4:5], vcc
	s_cbranch_execz .LBB14_3
; %bb.2:
	ds_read_b32 v2, v2 offset:12
	s_waitcnt lgkmcnt(0)
	v_add_u32_e32 v1, v2, v1
.LBB14_3:
	s_or_b64 exec, exec, s[4:5]
	v_mbcnt_lo_u32_b32 v2, -1, 0
	v_mbcnt_hi_u32_b32 v2, -1, v2
	v_and_b32_e32 v3, 63, v2
	v_cmp_ne_u32_e32 vcc, 63, v3
	v_addc_co_u32_e32 v4, vcc, 0, v2, vcc
	v_lshlrev_b32_e32 v4, 2, v4
	ds_bpermute_b32 v4, v4, v1
	v_add_u32_e32 v5, 1, v2
	v_cmp_gt_u32_e32 vcc, 64, v5
	v_add_u32_e32 v5, 2, v2
	s_waitcnt lgkmcnt(0)
	v_cndmask_b32_e32 v4, 0, v4, vcc
	v_cmp_gt_u32_e32 vcc, 62, v3
	v_add_u32_e32 v1, v4, v1
	v_cndmask_b32_e64 v4, 0, 1, vcc
	v_lshlrev_b32_e32 v4, 1, v4
	v_add_lshl_u32 v4, v4, v2, 2
	ds_bpermute_b32 v4, v4, v1
	v_cmp_gt_u32_e32 vcc, 64, v5
	v_add_u32_e32 v5, 4, v2
	s_waitcnt lgkmcnt(0)
	v_cndmask_b32_e32 v4, 0, v4, vcc
	v_cmp_gt_u32_e32 vcc, 60, v3
	v_add_u32_e32 v1, v1, v4
	v_cndmask_b32_e64 v4, 0, 1, vcc
	v_lshlrev_b32_e32 v4, 2, v4
	v_add_lshl_u32 v4, v4, v2, 2
	ds_bpermute_b32 v4, v4, v1
	;; [unrolled: 10-line block ×4, first 2 shown]
	v_cmp_gt_u32_e32 vcc, 64, v5
	s_waitcnt lgkmcnt(0)
	v_cndmask_b32_e32 v4, 0, v4, vcc
	v_cmp_gt_u32_e32 vcc, 32, v3
	v_cndmask_b32_e64 v3, 0, 1, vcc
	v_lshlrev_b32_e32 v3, 5, v3
	v_add_u32_e32 v1, v1, v4
	v_add_lshl_u32 v3, v3, v2, 2
	ds_bpermute_b32 v3, v3, v1
	v_add_u32_e32 v2, 32, v2
	v_cmp_gt_u32_e32 vcc, 64, v2
	s_waitcnt lgkmcnt(0)
	v_cndmask_b32_e32 v2, 0, v3, vcc
	v_add_u32_e32 v1, v1, v2
.LBB14_4:
	s_or_b64 exec, exec, s[0:1]
	s_mov_b32 s7, 0
	v_cmp_eq_u32_e32 vcc, 0, v0
	s_and_saveexec_b64 s[0:1], vcc
	s_cbranch_execz .LBB14_6
; %bb.5:
	s_lshl_b64 s[0:1], s[6:7], 2
	s_add_u32 s0, s2, s0
	s_addc_u32 s1, s3, s1
	v_mov_b32_e32 v0, 0
	global_store_dword v0, v1, s[0:1]
.LBB14_6:
	s_endpgm
	.section	.rodata,"a",@progbits
	.p2align	6, 0x0
	.amdhsa_kernel _Z13reduce_kernelILj255ELN6hipcub20BlockReduceAlgorithmE1EjEvPT1_S3_
		.amdhsa_group_segment_fixed_size 1020
		.amdhsa_private_segment_fixed_size 0
		.amdhsa_kernarg_size 16
		.amdhsa_user_sgpr_count 6
		.amdhsa_user_sgpr_private_segment_buffer 1
		.amdhsa_user_sgpr_dispatch_ptr 0
		.amdhsa_user_sgpr_queue_ptr 0
		.amdhsa_user_sgpr_kernarg_segment_ptr 1
		.amdhsa_user_sgpr_dispatch_id 0
		.amdhsa_user_sgpr_flat_scratch_init 0
		.amdhsa_user_sgpr_kernarg_preload_length 0
		.amdhsa_user_sgpr_kernarg_preload_offset 0
		.amdhsa_user_sgpr_private_segment_size 0
		.amdhsa_uses_dynamic_stack 0
		.amdhsa_system_sgpr_private_segment_wavefront_offset 0
		.amdhsa_system_sgpr_workgroup_id_x 1
		.amdhsa_system_sgpr_workgroup_id_y 0
		.amdhsa_system_sgpr_workgroup_id_z 0
		.amdhsa_system_sgpr_workgroup_info 0
		.amdhsa_system_vgpr_workitem_id 0
		.amdhsa_next_free_vgpr 6
		.amdhsa_next_free_sgpr 8
		.amdhsa_accum_offset 8
		.amdhsa_reserve_vcc 1
		.amdhsa_reserve_flat_scratch 0
		.amdhsa_float_round_mode_32 0
		.amdhsa_float_round_mode_16_64 0
		.amdhsa_float_denorm_mode_32 3
		.amdhsa_float_denorm_mode_16_64 3
		.amdhsa_dx10_clamp 1
		.amdhsa_ieee_mode 1
		.amdhsa_fp16_overflow 0
		.amdhsa_tg_split 0
		.amdhsa_exception_fp_ieee_invalid_op 0
		.amdhsa_exception_fp_denorm_src 0
		.amdhsa_exception_fp_ieee_div_zero 0
		.amdhsa_exception_fp_ieee_overflow 0
		.amdhsa_exception_fp_ieee_underflow 0
		.amdhsa_exception_fp_ieee_inexact 0
		.amdhsa_exception_int_div_zero 0
	.end_amdhsa_kernel
	.section	.text._Z13reduce_kernelILj255ELN6hipcub20BlockReduceAlgorithmE1EjEvPT1_S3_,"axG",@progbits,_Z13reduce_kernelILj255ELN6hipcub20BlockReduceAlgorithmE1EjEvPT1_S3_,comdat
.Lfunc_end14:
	.size	_Z13reduce_kernelILj255ELN6hipcub20BlockReduceAlgorithmE1EjEvPT1_S3_, .Lfunc_end14-_Z13reduce_kernelILj255ELN6hipcub20BlockReduceAlgorithmE1EjEvPT1_S3_
                                        ; -- End function
	.section	.AMDGPU.csdata,"",@progbits
; Kernel info:
; codeLenInByte = 536
; NumSgprs: 12
; NumVgprs: 6
; NumAgprs: 0
; TotalNumVgprs: 6
; ScratchSize: 0
; MemoryBound: 0
; FloatMode: 240
; IeeeMode: 1
; LDSByteSize: 1020 bytes/workgroup (compile time only)
; SGPRBlocks: 1
; VGPRBlocks: 0
; NumSGPRsForWavesPerEU: 12
; NumVGPRsForWavesPerEU: 6
; AccumOffset: 8
; Occupancy: 8
; WaveLimiterHint : 0
; COMPUTE_PGM_RSRC2:SCRATCH_EN: 0
; COMPUTE_PGM_RSRC2:USER_SGPR: 6
; COMPUTE_PGM_RSRC2:TRAP_HANDLER: 0
; COMPUTE_PGM_RSRC2:TGID_X_EN: 1
; COMPUTE_PGM_RSRC2:TGID_Y_EN: 0
; COMPUTE_PGM_RSRC2:TGID_Z_EN: 0
; COMPUTE_PGM_RSRC2:TIDIG_COMP_CNT: 0
; COMPUTE_PGM_RSRC3_GFX90A:ACCUM_OFFSET: 1
; COMPUTE_PGM_RSRC3_GFX90A:TG_SPLIT: 0
	.section	.text._Z13reduce_kernelILj162ELN6hipcub20BlockReduceAlgorithmE1EsEvPT1_S3_,"axG",@progbits,_Z13reduce_kernelILj162ELN6hipcub20BlockReduceAlgorithmE1EsEvPT1_S3_,comdat
	.protected	_Z13reduce_kernelILj162ELN6hipcub20BlockReduceAlgorithmE1EsEvPT1_S3_ ; -- Begin function _Z13reduce_kernelILj162ELN6hipcub20BlockReduceAlgorithmE1EsEvPT1_S3_
	.globl	_Z13reduce_kernelILj162ELN6hipcub20BlockReduceAlgorithmE1EsEvPT1_S3_
	.p2align	8
	.type	_Z13reduce_kernelILj162ELN6hipcub20BlockReduceAlgorithmE1EsEvPT1_S3_,@function
_Z13reduce_kernelILj162ELN6hipcub20BlockReduceAlgorithmE1EsEvPT1_S3_: ; @_Z13reduce_kernelILj162ELN6hipcub20BlockReduceAlgorithmE1EsEvPT1_S3_
; %bb.0:
	s_load_dwordx4 s[0:3], s[4:5], 0x0
	s_mul_i32 s4, s6, 0xa2
	v_add_u32_e32 v2, s4, v0
	v_mov_b32_e32 v3, 0
	v_lshlrev_b64 v[2:3], 1, v[2:3]
	s_waitcnt lgkmcnt(0)
	v_mov_b32_e32 v1, s1
	v_add_co_u32_e32 v2, vcc, s0, v2
	v_addc_co_u32_e32 v3, vcc, v1, v3, vcc
	global_load_ushort v1, v[2:3], off
	v_lshlrev_b32_e32 v2, 1, v0
	v_cmp_gt_u32_e32 vcc, 54, v0
	s_waitcnt vmcnt(0)
	ds_write_b16 v2, v1
	s_waitcnt lgkmcnt(0)
	s_barrier
	s_and_saveexec_b64 s[0:1], vcc
	s_cbranch_execz .LBB15_2
; %bb.1:
	v_mul_u32_u24_e32 v1, 3, v0
	v_lshlrev_b32_e32 v1, 1, v1
	ds_read_b32 v2, v1
	ds_read_u16 v1, v1 offset:4
	v_mbcnt_lo_u32_b32 v3, -1, 0
	v_mbcnt_hi_u32_b32 v3, -1, v3
	v_and_b32_e32 v4, 63, v3
	s_waitcnt lgkmcnt(1)
	v_add_u16_sdwa v2, v2, v2 dst_sel:DWORD dst_unused:UNUSED_PAD src0_sel:WORD_1 src1_sel:DWORD
	v_cmp_ne_u32_e32 vcc, 63, v4
	s_waitcnt lgkmcnt(0)
	v_add_u16_e32 v1, v2, v1
	v_addc_co_u32_e32 v2, vcc, 0, v3, vcc
	v_lshlrev_b32_e32 v2, 2, v2
	ds_bpermute_b32 v2, v2, v1
	v_add_u32_e32 v5, 1, v3
	v_cmp_gt_u32_e32 vcc, 54, v5
	v_add_u32_e32 v6, 2, v3
	s_movk_i32 s4, 0x55
	s_waitcnt lgkmcnt(0)
	v_add_u16_e32 v2, v1, v2
	v_cndmask_b32_e32 v2, v1, v2, vcc
	v_cmp_gt_u32_e32 vcc, 62, v4
	v_cndmask_b32_e64 v5, 0, 1, vcc
	v_lshlrev_b32_e32 v5, 1, v5
	v_add_lshl_u32 v5, v5, v3, 2
	ds_bpermute_b32 v5, v5, v2
	v_cmp_gt_u32_e32 vcc, 54, v6
	v_add_u32_e32 v6, 4, v3
	s_waitcnt lgkmcnt(0)
	v_add_u16_e32 v5, v2, v5
	v_cndmask_b32_e32 v2, v2, v5, vcc
	v_cmp_gt_u32_e32 vcc, 60, v4
	v_cndmask_b32_e64 v5, 0, 1, vcc
	v_lshlrev_b32_e32 v5, 2, v5
	v_add_lshl_u32 v5, v5, v3, 2
	ds_bpermute_b32 v5, v5, v2
	v_cmp_gt_u32_e32 vcc, 54, v6
	v_add_u32_e32 v6, 8, v3
	;; [unrolled: 10-line block ×3, first 2 shown]
	s_waitcnt lgkmcnt(0)
	v_add_u16_e32 v5, v2, v5
	v_cndmask_b32_e32 v2, v2, v5, vcc
	v_cmp_gt_u32_e32 vcc, 48, v4
	v_cndmask_b32_e64 v5, 0, 1, vcc
	v_lshlrev_b32_e32 v5, 4, v5
	v_add_lshl_u32 v5, v5, v3, 2
	ds_bpermute_b32 v5, v5, v2
	v_cmp_gt_u32_e32 vcc, 54, v6
	s_waitcnt lgkmcnt(0)
	v_add_u16_e32 v5, v2, v5
	v_cndmask_b32_e32 v2, v2, v5, vcc
	v_cmp_gt_u32_e32 vcc, 32, v4
	v_cndmask_b32_e64 v4, 0, 1, vcc
	v_lshlrev_b32_e32 v4, 5, v4
	v_add_lshl_u32 v4, v4, v3, 2
	ds_bpermute_b32 v4, v4, v2
	v_add_u32_e32 v3, 32, v3
	v_cmp_gt_u32_e32 vcc, 54, v3
	s_waitcnt lgkmcnt(0)
	v_cndmask_b32_e32 v4, 0, v4, vcc
	v_add_u16_e32 v2, v2, v4
	v_cmp_gt_u32_e32 vcc, s4, v3
	v_cndmask_b32_e32 v1, v1, v2, vcc
.LBB15_2:
	s_or_b64 exec, exec, s[0:1]
	s_mov_b32 s7, 0
	v_cmp_eq_u32_e32 vcc, 0, v0
	s_and_saveexec_b64 s[0:1], vcc
	s_cbranch_execz .LBB15_4
; %bb.3:
	s_lshl_b64 s[0:1], s[6:7], 1
	s_add_u32 s0, s2, s0
	s_addc_u32 s1, s3, s1
	v_mov_b32_e32 v0, 0
	global_store_short v0, v1, s[0:1]
.LBB15_4:
	s_endpgm
	.section	.rodata,"a",@progbits
	.p2align	6, 0x0
	.amdhsa_kernel _Z13reduce_kernelILj162ELN6hipcub20BlockReduceAlgorithmE1EsEvPT1_S3_
		.amdhsa_group_segment_fixed_size 324
		.amdhsa_private_segment_fixed_size 0
		.amdhsa_kernarg_size 16
		.amdhsa_user_sgpr_count 6
		.amdhsa_user_sgpr_private_segment_buffer 1
		.amdhsa_user_sgpr_dispatch_ptr 0
		.amdhsa_user_sgpr_queue_ptr 0
		.amdhsa_user_sgpr_kernarg_segment_ptr 1
		.amdhsa_user_sgpr_dispatch_id 0
		.amdhsa_user_sgpr_flat_scratch_init 0
		.amdhsa_user_sgpr_kernarg_preload_length 0
		.amdhsa_user_sgpr_kernarg_preload_offset 0
		.amdhsa_user_sgpr_private_segment_size 0
		.amdhsa_uses_dynamic_stack 0
		.amdhsa_system_sgpr_private_segment_wavefront_offset 0
		.amdhsa_system_sgpr_workgroup_id_x 1
		.amdhsa_system_sgpr_workgroup_id_y 0
		.amdhsa_system_sgpr_workgroup_id_z 0
		.amdhsa_system_sgpr_workgroup_info 0
		.amdhsa_system_vgpr_workitem_id 0
		.amdhsa_next_free_vgpr 7
		.amdhsa_next_free_sgpr 8
		.amdhsa_accum_offset 8
		.amdhsa_reserve_vcc 1
		.amdhsa_reserve_flat_scratch 0
		.amdhsa_float_round_mode_32 0
		.amdhsa_float_round_mode_16_64 0
		.amdhsa_float_denorm_mode_32 3
		.amdhsa_float_denorm_mode_16_64 3
		.amdhsa_dx10_clamp 1
		.amdhsa_ieee_mode 1
		.amdhsa_fp16_overflow 0
		.amdhsa_tg_split 0
		.amdhsa_exception_fp_ieee_invalid_op 0
		.amdhsa_exception_fp_denorm_src 0
		.amdhsa_exception_fp_ieee_div_zero 0
		.amdhsa_exception_fp_ieee_overflow 0
		.amdhsa_exception_fp_ieee_underflow 0
		.amdhsa_exception_fp_ieee_inexact 0
		.amdhsa_exception_int_div_zero 0
	.end_amdhsa_kernel
	.section	.text._Z13reduce_kernelILj162ELN6hipcub20BlockReduceAlgorithmE1EsEvPT1_S3_,"axG",@progbits,_Z13reduce_kernelILj162ELN6hipcub20BlockReduceAlgorithmE1EsEvPT1_S3_,comdat
.Lfunc_end15:
	.size	_Z13reduce_kernelILj162ELN6hipcub20BlockReduceAlgorithmE1EsEvPT1_S3_, .Lfunc_end15-_Z13reduce_kernelILj162ELN6hipcub20BlockReduceAlgorithmE1EsEvPT1_S3_
                                        ; -- End function
	.section	.AMDGPU.csdata,"",@progbits
; Kernel info:
; codeLenInByte = 516
; NumSgprs: 12
; NumVgprs: 7
; NumAgprs: 0
; TotalNumVgprs: 7
; ScratchSize: 0
; MemoryBound: 0
; FloatMode: 240
; IeeeMode: 1
; LDSByteSize: 324 bytes/workgroup (compile time only)
; SGPRBlocks: 1
; VGPRBlocks: 0
; NumSGPRsForWavesPerEU: 12
; NumVGPRsForWavesPerEU: 7
; AccumOffset: 8
; Occupancy: 8
; WaveLimiterHint : 0
; COMPUTE_PGM_RSRC2:SCRATCH_EN: 0
; COMPUTE_PGM_RSRC2:USER_SGPR: 6
; COMPUTE_PGM_RSRC2:TRAP_HANDLER: 0
; COMPUTE_PGM_RSRC2:TGID_X_EN: 1
; COMPUTE_PGM_RSRC2:TGID_Y_EN: 0
; COMPUTE_PGM_RSRC2:TGID_Z_EN: 0
; COMPUTE_PGM_RSRC2:TIDIG_COMP_CNT: 0
; COMPUTE_PGM_RSRC3_GFX90A:ACCUM_OFFSET: 1
; COMPUTE_PGM_RSRC3_GFX90A:TG_SPLIT: 0
	.section	.text._Z13reduce_kernelILj37ELN6hipcub20BlockReduceAlgorithmE1ElEvPT1_S3_,"axG",@progbits,_Z13reduce_kernelILj37ELN6hipcub20BlockReduceAlgorithmE1ElEvPT1_S3_,comdat
	.protected	_Z13reduce_kernelILj37ELN6hipcub20BlockReduceAlgorithmE1ElEvPT1_S3_ ; -- Begin function _Z13reduce_kernelILj37ELN6hipcub20BlockReduceAlgorithmE1ElEvPT1_S3_
	.globl	_Z13reduce_kernelILj37ELN6hipcub20BlockReduceAlgorithmE1ElEvPT1_S3_
	.p2align	8
	.type	_Z13reduce_kernelILj37ELN6hipcub20BlockReduceAlgorithmE1ElEvPT1_S3_,@function
_Z13reduce_kernelILj37ELN6hipcub20BlockReduceAlgorithmE1ElEvPT1_S3_: ; @_Z13reduce_kernelILj37ELN6hipcub20BlockReduceAlgorithmE1ElEvPT1_S3_
; %bb.0:
	s_load_dwordx4 s[0:3], s[4:5], 0x0
	v_mad_u64_u32 v[2:3], s[4:5], s6, 37, v[0:1]
	v_mov_b32_e32 v3, 0
	v_lshlrev_b64 v[2:3], 3, v[2:3]
	s_waitcnt lgkmcnt(0)
	v_mov_b32_e32 v1, s1
	v_add_co_u32_e32 v2, vcc, s0, v2
	v_addc_co_u32_e32 v3, vcc, v1, v3, vcc
	global_load_dwordx2 v[2:3], v[2:3], off
	v_lshlrev_b32_e32 v1, 2, v0
	v_cmp_gt_u32_e32 vcc, 37, v0
	s_waitcnt vmcnt(0)
	ds_write2_b32 v1, v2, v3 offset1:37
	s_waitcnt lgkmcnt(0)
	; wave barrier
	s_waitcnt lgkmcnt(0)
	s_and_saveexec_b64 s[4:5], vcc
	s_cbranch_execz .LBB16_2
; %bb.1:
	ds_read2_b32 v[2:3], v1 offset1:37
	v_mbcnt_lo_u32_b32 v1, -1, 0
	v_mbcnt_hi_u32_b32 v1, -1, v1
	v_and_b32_e32 v4, 63, v1
	v_cmp_ne_u32_e32 vcc, 63, v4
	v_addc_co_u32_e32 v5, vcc, 0, v1, vcc
	v_lshlrev_b32_e32 v5, 2, v5
	s_waitcnt lgkmcnt(0)
	ds_bpermute_b32 v6, v5, v2
	ds_bpermute_b32 v5, v5, v3
	v_add_u32_e32 v7, 1, v1
	v_cmp_gt_u32_e64 s[0:1], 62, v4
	v_add_u32_e32 v10, 2, v1
	s_waitcnt lgkmcnt(1)
	v_add_co_u32_e32 v6, vcc, v2, v6
	v_addc_co_u32_e32 v8, vcc, 0, v3, vcc
	v_add_co_u32_e32 v9, vcc, 0, v6
	s_waitcnt lgkmcnt(0)
	v_addc_co_u32_e32 v5, vcc, v5, v8, vcc
	v_cmp_gt_u32_e32 vcc, 37, v7
	v_cndmask_b32_e64 v7, 0, 1, s[0:1]
	v_lshlrev_b32_e32 v7, 1, v7
	v_cndmask_b32_e32 v6, v2, v6, vcc
	v_add_lshl_u32 v7, v7, v1, 2
	v_cndmask_b32_e32 v5, v3, v5, vcc
	ds_bpermute_b32 v8, v7, v6
	ds_bpermute_b32 v7, v7, v5
	v_cndmask_b32_e32 v9, v2, v9, vcc
	v_cmp_gt_u32_e64 s[0:1], 60, v4
	s_waitcnt lgkmcnt(1)
	v_add_co_u32_e32 v8, vcc, v8, v9
	s_waitcnt lgkmcnt(0)
	v_addc_co_u32_e32 v7, vcc, v7, v5, vcc
	v_cmp_gt_u32_e32 vcc, 37, v10
	v_cndmask_b32_e32 v5, v5, v7, vcc
	v_cndmask_b32_e64 v7, 0, 1, s[0:1]
	v_lshlrev_b32_e32 v7, 2, v7
	v_cndmask_b32_e32 v6, v6, v8, vcc
	v_add_lshl_u32 v7, v7, v1, 2
	ds_bpermute_b32 v10, v7, v6
	ds_bpermute_b32 v7, v7, v5
	v_cndmask_b32_e32 v8, v9, v8, vcc
	v_add_u32_e32 v9, 4, v1
	v_cmp_gt_u32_e64 s[0:1], 56, v4
	s_waitcnt lgkmcnt(1)
	v_add_co_u32_e32 v10, vcc, v10, v8
	s_waitcnt lgkmcnt(0)
	v_addc_co_u32_e32 v7, vcc, v7, v5, vcc
	v_cmp_gt_u32_e32 vcc, 37, v9
	v_cndmask_b32_e32 v5, v5, v7, vcc
	v_cndmask_b32_e64 v7, 0, 1, s[0:1]
	v_lshlrev_b32_e32 v7, 3, v7
	v_cndmask_b32_e32 v6, v6, v10, vcc
	v_add_lshl_u32 v7, v7, v1, 2
	ds_bpermute_b32 v9, v7, v6
	ds_bpermute_b32 v7, v7, v5
	v_cndmask_b32_e32 v8, v8, v10, vcc
	v_add_u32_e32 v10, 8, v1
	v_cmp_gt_u32_e64 s[0:1], 48, v4
	s_waitcnt lgkmcnt(1)
	v_add_co_u32_e32 v9, vcc, v9, v8
	s_waitcnt lgkmcnt(0)
	v_addc_co_u32_e32 v7, vcc, v7, v5, vcc
	v_cmp_gt_u32_e32 vcc, 37, v10
	v_cndmask_b32_e32 v5, v5, v7, vcc
	v_cndmask_b32_e64 v7, 0, 1, s[0:1]
	v_lshlrev_b32_e32 v7, 4, v7
	v_cndmask_b32_e32 v6, v6, v9, vcc
	v_add_lshl_u32 v7, v7, v1, 2
	ds_bpermute_b32 v10, v7, v6
	ds_bpermute_b32 v7, v7, v5
	v_cndmask_b32_e32 v8, v8, v9, vcc
	v_cmp_gt_u32_e64 s[0:1], 32, v4
	v_add_u32_e32 v9, 16, v1
	s_waitcnt lgkmcnt(1)
	v_add_co_u32_e32 v10, vcc, v10, v8
	s_waitcnt lgkmcnt(0)
	v_addc_co_u32_e32 v7, vcc, v7, v5, vcc
	v_cndmask_b32_e64 v4, 0, 1, s[0:1]
	v_cmp_gt_u32_e32 vcc, 37, v9
	v_lshlrev_b32_e32 v4, 5, v4
	v_cndmask_b32_e32 v6, v6, v10, vcc
	v_add_lshl_u32 v4, v4, v1, 2
	v_cndmask_b32_e32 v5, v5, v7, vcc
	ds_bpermute_b32 v6, v4, v6
	ds_bpermute_b32 v4, v4, v5
	v_add_u32_e32 v1, 32, v1
	v_cndmask_b32_e32 v7, v8, v10, vcc
	v_cmp_gt_u32_e32 vcc, 37, v1
	s_waitcnt lgkmcnt(1)
	v_cndmask_b32_e32 v6, 0, v6, vcc
	s_waitcnt lgkmcnt(0)
	v_cndmask_b32_e32 v4, 0, v4, vcc
	v_add_co_u32_e32 v6, vcc, v6, v7
	s_movk_i32 s0, 0x44
	v_addc_co_u32_e32 v4, vcc, v4, v5, vcc
	v_cmp_gt_u32_e32 vcc, s0, v1
	v_cndmask_b32_e32 v3, v3, v4, vcc
	v_cndmask_b32_e32 v2, v2, v6, vcc
.LBB16_2:
	s_or_b64 exec, exec, s[4:5]
	s_mov_b32 s7, 0
	v_cmp_eq_u32_e32 vcc, 0, v0
	s_and_saveexec_b64 s[0:1], vcc
	s_cbranch_execz .LBB16_4
; %bb.3:
	s_lshl_b64 s[0:1], s[6:7], 3
	s_add_u32 s0, s2, s0
	s_addc_u32 s1, s3, s1
	v_mov_b32_e32 v0, 0
	global_store_dwordx2 v0, v[2:3], s[0:1]
.LBB16_4:
	s_endpgm
	.section	.rodata,"a",@progbits
	.p2align	6, 0x0
	.amdhsa_kernel _Z13reduce_kernelILj37ELN6hipcub20BlockReduceAlgorithmE1ElEvPT1_S3_
		.amdhsa_group_segment_fixed_size 296
		.amdhsa_private_segment_fixed_size 0
		.amdhsa_kernarg_size 16
		.amdhsa_user_sgpr_count 6
		.amdhsa_user_sgpr_private_segment_buffer 1
		.amdhsa_user_sgpr_dispatch_ptr 0
		.amdhsa_user_sgpr_queue_ptr 0
		.amdhsa_user_sgpr_kernarg_segment_ptr 1
		.amdhsa_user_sgpr_dispatch_id 0
		.amdhsa_user_sgpr_flat_scratch_init 0
		.amdhsa_user_sgpr_kernarg_preload_length 0
		.amdhsa_user_sgpr_kernarg_preload_offset 0
		.amdhsa_user_sgpr_private_segment_size 0
		.amdhsa_uses_dynamic_stack 0
		.amdhsa_system_sgpr_private_segment_wavefront_offset 0
		.amdhsa_system_sgpr_workgroup_id_x 1
		.amdhsa_system_sgpr_workgroup_id_y 0
		.amdhsa_system_sgpr_workgroup_id_z 0
		.amdhsa_system_sgpr_workgroup_info 0
		.amdhsa_system_vgpr_workitem_id 0
		.amdhsa_next_free_vgpr 11
		.amdhsa_next_free_sgpr 8
		.amdhsa_accum_offset 12
		.amdhsa_reserve_vcc 1
		.amdhsa_reserve_flat_scratch 0
		.amdhsa_float_round_mode_32 0
		.amdhsa_float_round_mode_16_64 0
		.amdhsa_float_denorm_mode_32 3
		.amdhsa_float_denorm_mode_16_64 3
		.amdhsa_dx10_clamp 1
		.amdhsa_ieee_mode 1
		.amdhsa_fp16_overflow 0
		.amdhsa_tg_split 0
		.amdhsa_exception_fp_ieee_invalid_op 0
		.amdhsa_exception_fp_denorm_src 0
		.amdhsa_exception_fp_ieee_div_zero 0
		.amdhsa_exception_fp_ieee_overflow 0
		.amdhsa_exception_fp_ieee_underflow 0
		.amdhsa_exception_fp_ieee_inexact 0
		.amdhsa_exception_int_div_zero 0
	.end_amdhsa_kernel
	.section	.text._Z13reduce_kernelILj37ELN6hipcub20BlockReduceAlgorithmE1ElEvPT1_S3_,"axG",@progbits,_Z13reduce_kernelILj37ELN6hipcub20BlockReduceAlgorithmE1ElEvPT1_S3_,comdat
.Lfunc_end16:
	.size	_Z13reduce_kernelILj37ELN6hipcub20BlockReduceAlgorithmE1ElEvPT1_S3_, .Lfunc_end16-_Z13reduce_kernelILj37ELN6hipcub20BlockReduceAlgorithmE1ElEvPT1_S3_
                                        ; -- End function
	.section	.AMDGPU.csdata,"",@progbits
; Kernel info:
; codeLenInByte = 652
; NumSgprs: 12
; NumVgprs: 11
; NumAgprs: 0
; TotalNumVgprs: 11
; ScratchSize: 0
; MemoryBound: 0
; FloatMode: 240
; IeeeMode: 1
; LDSByteSize: 296 bytes/workgroup (compile time only)
; SGPRBlocks: 1
; VGPRBlocks: 1
; NumSGPRsForWavesPerEU: 12
; NumVGPRsForWavesPerEU: 11
; AccumOffset: 12
; Occupancy: 8
; WaveLimiterHint : 0
; COMPUTE_PGM_RSRC2:SCRATCH_EN: 0
; COMPUTE_PGM_RSRC2:USER_SGPR: 6
; COMPUTE_PGM_RSRC2:TRAP_HANDLER: 0
; COMPUTE_PGM_RSRC2:TGID_X_EN: 1
; COMPUTE_PGM_RSRC2:TGID_Y_EN: 0
; COMPUTE_PGM_RSRC2:TGID_Z_EN: 0
; COMPUTE_PGM_RSRC2:TIDIG_COMP_CNT: 0
; COMPUTE_PGM_RSRC3_GFX90A:ACCUM_OFFSET: 2
; COMPUTE_PGM_RSRC3_GFX90A:TG_SPLIT: 0
	.section	.text._Z13reduce_kernelILj65ELN6hipcub20BlockReduceAlgorithmE1EmEvPT1_S3_,"axG",@progbits,_Z13reduce_kernelILj65ELN6hipcub20BlockReduceAlgorithmE1EmEvPT1_S3_,comdat
	.protected	_Z13reduce_kernelILj65ELN6hipcub20BlockReduceAlgorithmE1EmEvPT1_S3_ ; -- Begin function _Z13reduce_kernelILj65ELN6hipcub20BlockReduceAlgorithmE1EmEvPT1_S3_
	.globl	_Z13reduce_kernelILj65ELN6hipcub20BlockReduceAlgorithmE1EmEvPT1_S3_
	.p2align	8
	.type	_Z13reduce_kernelILj65ELN6hipcub20BlockReduceAlgorithmE1EmEvPT1_S3_,@function
_Z13reduce_kernelILj65ELN6hipcub20BlockReduceAlgorithmE1EmEvPT1_S3_: ; @_Z13reduce_kernelILj65ELN6hipcub20BlockReduceAlgorithmE1EmEvPT1_S3_
; %bb.0:
	s_load_dwordx4 s[0:3], s[4:5], 0x0
	s_mul_i32 s4, s6, 0x41
	v_add_u32_e32 v2, s4, v0
	v_mov_b32_e32 v3, 0
	v_lshlrev_b64 v[2:3], 3, v[2:3]
	s_waitcnt lgkmcnt(0)
	v_mov_b32_e32 v1, s1
	v_add_co_u32_e32 v2, vcc, s0, v2
	v_addc_co_u32_e32 v3, vcc, v1, v3, vcc
	global_load_dwordx2 v[2:3], v[2:3], off
	s_movk_i32 s0, 0x41
	v_lshlrev_b32_e32 v1, 2, v0
	v_cmp_gt_u32_e32 vcc, 33, v0
	s_waitcnt vmcnt(0)
	ds_write2_b32 v1, v2, v3 offset1:65
	s_waitcnt lgkmcnt(0)
	s_barrier
	s_and_saveexec_b64 s[4:5], vcc
	s_cbranch_execz .LBB17_4
; %bb.1:
	v_lshlrev_b32_e32 v1, 3, v0
	ds_read2_b32 v[2:3], v1 offset1:65
	v_lshl_or_b32 v4, v0, 1, 1
	v_cmp_gt_u32_e32 vcc, s0, v4
	s_and_saveexec_b64 s[0:1], vcc
	s_cbranch_execz .LBB17_3
; %bb.2:
	ds_read2_b32 v[4:5], v1 offset0:1 offset1:66
	s_waitcnt lgkmcnt(0)
	v_add_co_u32_e32 v2, vcc, v4, v2
	v_addc_co_u32_e32 v3, vcc, v5, v3, vcc
.LBB17_3:
	s_or_b64 exec, exec, s[0:1]
	v_mbcnt_lo_u32_b32 v1, -1, 0
	v_mbcnt_hi_u32_b32 v1, -1, v1
	v_and_b32_e32 v4, 63, v1
	v_cmp_ne_u32_e32 vcc, 63, v4
	v_addc_co_u32_e32 v5, vcc, 0, v1, vcc
	v_lshlrev_b32_e32 v5, 2, v5
	s_waitcnt lgkmcnt(0)
	ds_bpermute_b32 v6, v5, v2
	ds_bpermute_b32 v5, v5, v3
	v_add_u32_e32 v7, 1, v1
	v_cmp_gt_u32_e64 s[0:1], 62, v4
	v_add_u32_e32 v10, 2, v1
	s_waitcnt lgkmcnt(1)
	v_add_co_u32_e32 v6, vcc, v2, v6
	v_addc_co_u32_e32 v8, vcc, 0, v3, vcc
	v_add_co_u32_e32 v9, vcc, 0, v6
	s_waitcnt lgkmcnt(0)
	v_addc_co_u32_e32 v5, vcc, v5, v8, vcc
	v_cmp_gt_u32_e32 vcc, 33, v7
	v_cndmask_b32_e64 v7, 0, 1, s[0:1]
	v_lshlrev_b32_e32 v7, 1, v7
	v_cndmask_b32_e32 v6, v2, v6, vcc
	v_add_lshl_u32 v7, v7, v1, 2
	v_cndmask_b32_e32 v5, v3, v5, vcc
	ds_bpermute_b32 v8, v7, v6
	ds_bpermute_b32 v7, v7, v5
	v_cndmask_b32_e32 v9, v2, v9, vcc
	v_cmp_gt_u32_e64 s[0:1], 60, v4
	s_waitcnt lgkmcnt(1)
	v_add_co_u32_e32 v8, vcc, v8, v9
	s_waitcnt lgkmcnt(0)
	v_addc_co_u32_e32 v7, vcc, v7, v5, vcc
	v_cmp_gt_u32_e32 vcc, 33, v10
	v_cndmask_b32_e32 v5, v5, v7, vcc
	v_cndmask_b32_e64 v7, 0, 1, s[0:1]
	v_lshlrev_b32_e32 v7, 2, v7
	v_cndmask_b32_e32 v6, v6, v8, vcc
	v_add_lshl_u32 v7, v7, v1, 2
	ds_bpermute_b32 v10, v7, v6
	ds_bpermute_b32 v7, v7, v5
	v_cndmask_b32_e32 v8, v9, v8, vcc
	v_add_u32_e32 v9, 4, v1
	v_cmp_gt_u32_e64 s[0:1], 56, v4
	s_waitcnt lgkmcnt(1)
	v_add_co_u32_e32 v10, vcc, v10, v8
	s_waitcnt lgkmcnt(0)
	v_addc_co_u32_e32 v7, vcc, v7, v5, vcc
	v_cmp_gt_u32_e32 vcc, 33, v9
	v_cndmask_b32_e32 v5, v5, v7, vcc
	v_cndmask_b32_e64 v7, 0, 1, s[0:1]
	v_lshlrev_b32_e32 v7, 3, v7
	v_cndmask_b32_e32 v6, v6, v10, vcc
	v_add_lshl_u32 v7, v7, v1, 2
	ds_bpermute_b32 v9, v7, v6
	ds_bpermute_b32 v7, v7, v5
	v_cndmask_b32_e32 v8, v8, v10, vcc
	v_add_u32_e32 v10, 8, v1
	v_cmp_gt_u32_e64 s[0:1], 48, v4
	s_waitcnt lgkmcnt(1)
	v_add_co_u32_e32 v9, vcc, v9, v8
	s_waitcnt lgkmcnt(0)
	v_addc_co_u32_e32 v7, vcc, v7, v5, vcc
	v_cmp_gt_u32_e32 vcc, 33, v10
	v_cndmask_b32_e32 v5, v5, v7, vcc
	v_cndmask_b32_e64 v7, 0, 1, s[0:1]
	v_lshlrev_b32_e32 v7, 4, v7
	v_cndmask_b32_e32 v6, v6, v9, vcc
	v_add_lshl_u32 v7, v7, v1, 2
	ds_bpermute_b32 v10, v7, v6
	ds_bpermute_b32 v7, v7, v5
	v_cndmask_b32_e32 v8, v8, v9, vcc
	v_cmp_gt_u32_e64 s[0:1], 32, v4
	v_add_u32_e32 v9, 16, v1
	s_waitcnt lgkmcnt(1)
	v_add_co_u32_e32 v10, vcc, v10, v8
	s_waitcnt lgkmcnt(0)
	v_addc_co_u32_e32 v7, vcc, v7, v5, vcc
	v_cndmask_b32_e64 v4, 0, 1, s[0:1]
	v_cmp_gt_u32_e32 vcc, 33, v9
	v_lshlrev_b32_e32 v4, 5, v4
	v_cndmask_b32_e32 v6, v6, v10, vcc
	v_add_lshl_u32 v4, v4, v1, 2
	v_cndmask_b32_e32 v5, v5, v7, vcc
	ds_bpermute_b32 v7, v4, v5
	ds_bpermute_b32 v4, v4, v6
	v_add_u32_e32 v1, 32, v1
	v_cndmask_b32_e32 v6, v8, v10, vcc
	v_cmp_gt_u32_e32 vcc, 33, v1
	s_waitcnt lgkmcnt(1)
	v_cndmask_b32_e32 v7, 0, v7, vcc
	s_waitcnt lgkmcnt(0)
	v_cndmask_b32_e32 v4, 0, v4, vcc
	v_add_co_u32_e32 v4, vcc, v4, v6
	v_addc_co_u32_e32 v5, vcc, v7, v5, vcc
	v_cmp_gt_u32_e32 vcc, 64, v1
	v_cndmask_b32_e32 v3, v3, v5, vcc
	v_cndmask_b32_e32 v2, v2, v4, vcc
.LBB17_4:
	s_or_b64 exec, exec, s[4:5]
	s_mov_b32 s7, 0
	v_cmp_eq_u32_e32 vcc, 0, v0
	s_and_saveexec_b64 s[0:1], vcc
	s_cbranch_execz .LBB17_6
; %bb.5:
	s_lshl_b64 s[0:1], s[6:7], 3
	s_add_u32 s0, s2, s0
	s_addc_u32 s1, s3, s1
	v_mov_b32_e32 v0, 0
	global_store_dwordx2 v0, v[2:3], s[0:1]
.LBB17_6:
	s_endpgm
	.section	.rodata,"a",@progbits
	.p2align	6, 0x0
	.amdhsa_kernel _Z13reduce_kernelILj65ELN6hipcub20BlockReduceAlgorithmE1EmEvPT1_S3_
		.amdhsa_group_segment_fixed_size 520
		.amdhsa_private_segment_fixed_size 0
		.amdhsa_kernarg_size 16
		.amdhsa_user_sgpr_count 6
		.amdhsa_user_sgpr_private_segment_buffer 1
		.amdhsa_user_sgpr_dispatch_ptr 0
		.amdhsa_user_sgpr_queue_ptr 0
		.amdhsa_user_sgpr_kernarg_segment_ptr 1
		.amdhsa_user_sgpr_dispatch_id 0
		.amdhsa_user_sgpr_flat_scratch_init 0
		.amdhsa_user_sgpr_kernarg_preload_length 0
		.amdhsa_user_sgpr_kernarg_preload_offset 0
		.amdhsa_user_sgpr_private_segment_size 0
		.amdhsa_uses_dynamic_stack 0
		.amdhsa_system_sgpr_private_segment_wavefront_offset 0
		.amdhsa_system_sgpr_workgroup_id_x 1
		.amdhsa_system_sgpr_workgroup_id_y 0
		.amdhsa_system_sgpr_workgroup_id_z 0
		.amdhsa_system_sgpr_workgroup_info 0
		.amdhsa_system_vgpr_workitem_id 0
		.amdhsa_next_free_vgpr 11
		.amdhsa_next_free_sgpr 8
		.amdhsa_accum_offset 12
		.amdhsa_reserve_vcc 1
		.amdhsa_reserve_flat_scratch 0
		.amdhsa_float_round_mode_32 0
		.amdhsa_float_round_mode_16_64 0
		.amdhsa_float_denorm_mode_32 3
		.amdhsa_float_denorm_mode_16_64 3
		.amdhsa_dx10_clamp 1
		.amdhsa_ieee_mode 1
		.amdhsa_fp16_overflow 0
		.amdhsa_tg_split 0
		.amdhsa_exception_fp_ieee_invalid_op 0
		.amdhsa_exception_fp_denorm_src 0
		.amdhsa_exception_fp_ieee_div_zero 0
		.amdhsa_exception_fp_ieee_overflow 0
		.amdhsa_exception_fp_ieee_underflow 0
		.amdhsa_exception_fp_ieee_inexact 0
		.amdhsa_exception_int_div_zero 0
	.end_amdhsa_kernel
	.section	.text._Z13reduce_kernelILj65ELN6hipcub20BlockReduceAlgorithmE1EmEvPT1_S3_,"axG",@progbits,_Z13reduce_kernelILj65ELN6hipcub20BlockReduceAlgorithmE1EmEvPT1_S3_,comdat
.Lfunc_end17:
	.size	_Z13reduce_kernelILj65ELN6hipcub20BlockReduceAlgorithmE1EmEvPT1_S3_, .Lfunc_end17-_Z13reduce_kernelILj65ELN6hipcub20BlockReduceAlgorithmE1EmEvPT1_S3_
                                        ; -- End function
	.section	.AMDGPU.csdata,"",@progbits
; Kernel info:
; codeLenInByte = 704
; NumSgprs: 12
; NumVgprs: 11
; NumAgprs: 0
; TotalNumVgprs: 11
; ScratchSize: 0
; MemoryBound: 0
; FloatMode: 240
; IeeeMode: 1
; LDSByteSize: 520 bytes/workgroup (compile time only)
; SGPRBlocks: 1
; VGPRBlocks: 1
; NumSGPRsForWavesPerEU: 12
; NumVGPRsForWavesPerEU: 11
; AccumOffset: 12
; Occupancy: 8
; WaveLimiterHint : 0
; COMPUTE_PGM_RSRC2:SCRATCH_EN: 0
; COMPUTE_PGM_RSRC2:USER_SGPR: 6
; COMPUTE_PGM_RSRC2:TRAP_HANDLER: 0
; COMPUTE_PGM_RSRC2:TGID_X_EN: 1
; COMPUTE_PGM_RSRC2:TGID_Y_EN: 0
; COMPUTE_PGM_RSRC2:TGID_Z_EN: 0
; COMPUTE_PGM_RSRC2:TIDIG_COMP_CNT: 0
; COMPUTE_PGM_RSRC3_GFX90A:ACCUM_OFFSET: 2
; COMPUTE_PGM_RSRC3_GFX90A:TG_SPLIT: 0
	.section	.text._Z13reduce_kernelILj1024ELN6hipcub20BlockReduceAlgorithmE1EiEvPT1_S3_,"axG",@progbits,_Z13reduce_kernelILj1024ELN6hipcub20BlockReduceAlgorithmE1EiEvPT1_S3_,comdat
	.protected	_Z13reduce_kernelILj1024ELN6hipcub20BlockReduceAlgorithmE1EiEvPT1_S3_ ; -- Begin function _Z13reduce_kernelILj1024ELN6hipcub20BlockReduceAlgorithmE1EiEvPT1_S3_
	.globl	_Z13reduce_kernelILj1024ELN6hipcub20BlockReduceAlgorithmE1EiEvPT1_S3_
	.p2align	8
	.type	_Z13reduce_kernelILj1024ELN6hipcub20BlockReduceAlgorithmE1EiEvPT1_S3_,@function
_Z13reduce_kernelILj1024ELN6hipcub20BlockReduceAlgorithmE1EiEvPT1_S3_: ; @_Z13reduce_kernelILj1024ELN6hipcub20BlockReduceAlgorithmE1EiEvPT1_S3_
; %bb.0:
	s_load_dwordx4 s[0:3], s[4:5], 0x0
	v_lshl_or_b32 v2, s6, 10, v0
	v_mov_b32_e32 v3, 0
	v_lshlrev_b64 v[2:3], 2, v[2:3]
	s_waitcnt lgkmcnt(0)
	v_mov_b32_e32 v1, s1
	v_add_co_u32_e32 v2, vcc, s0, v2
	v_addc_co_u32_e32 v3, vcc, v1, v3, vcc
	global_load_dword v1, v[2:3], off
	v_lshlrev_b32_e32 v2, 2, v0
	v_cmp_gt_u32_e32 vcc, 64, v0
	s_waitcnt vmcnt(0)
	ds_write_b32 v2, v1
	s_waitcnt lgkmcnt(0)
	s_barrier
	s_and_saveexec_b64 s[0:1], vcc
	s_cbranch_execz .LBB18_2
; %bb.1:
	v_lshlrev_b32_e32 v1, 6, v0
	ds_read2_b32 v[2:3], v1 offset1:1
	ds_read2_b32 v[4:5], v1 offset0:6 offset1:7
	ds_read2_b32 v[6:7], v1 offset0:4 offset1:5
	;; [unrolled: 1-line block ×7, first 2 shown]
	s_waitcnt lgkmcnt(4)
	v_add_u32_e32 v1, v8, v4
	v_add_u32_e32 v4, v9, v5
	v_add3_u32 v3, v3, v7, v4
	v_add3_u32 v1, v2, v6, v1
	s_waitcnt lgkmcnt(0)
	v_add_u32_e32 v5, v17, v13
	v_add_u32_e32 v2, v16, v12
	;; [unrolled: 1-line block ×3, first 2 shown]
	v_add3_u32 v5, v11, v15, v5
	v_add3_u32 v2, v4, v2, v5
	;; [unrolled: 1-line block ×3, first 2 shown]
	v_bfrev_b32_e32 v3, 0.5
	s_nop 0
	v_mov_b32_dpp v2, v1 quad_perm:[1,0,3,2] row_mask:0xf bank_mask:0xf
	v_add_u32_e32 v1, v2, v1
	s_nop 1
	v_mov_b32_dpp v2, v1 quad_perm:[2,3,0,1] row_mask:0xf bank_mask:0xf
	v_add_u32_e32 v1, v1, v2
	s_nop 1
	v_mov_b32_dpp v2, v1 row_ror:4 row_mask:0xf bank_mask:0xf
	v_add_u32_e32 v1, v1, v2
	s_nop 1
	v_mov_b32_dpp v2, v1 row_ror:8 row_mask:0xf bank_mask:0xf
	v_add_u32_e32 v1, v1, v2
	s_nop 1
	v_mov_b32_dpp v2, v1 row_bcast:15 row_mask:0xf bank_mask:0xf
	v_add_u32_e32 v1, v1, v2
	s_nop 1
	v_mov_b32_dpp v2, v1 row_bcast:31 row_mask:0xf bank_mask:0xf
	v_add_u32_e32 v1, v1, v2
	v_mbcnt_lo_u32_b32 v2, -1, 0
	v_mbcnt_hi_u32_b32 v2, -1, v2
	v_lshl_or_b32 v2, v2, 2, v3
	ds_bpermute_b32 v1, v2, v1
.LBB18_2:
	s_or_b64 exec, exec, s[0:1]
	s_mov_b32 s7, 0
	v_cmp_eq_u32_e32 vcc, 0, v0
	s_and_saveexec_b64 s[0:1], vcc
	s_cbranch_execz .LBB18_4
; %bb.3:
	s_lshl_b64 s[0:1], s[6:7], 2
	s_add_u32 s0, s2, s0
	s_addc_u32 s1, s3, s1
	v_mov_b32_e32 v0, 0
	s_waitcnt lgkmcnt(0)
	global_store_dword v0, v1, s[0:1]
.LBB18_4:
	s_endpgm
	.section	.rodata,"a",@progbits
	.p2align	6, 0x0
	.amdhsa_kernel _Z13reduce_kernelILj1024ELN6hipcub20BlockReduceAlgorithmE1EiEvPT1_S3_
		.amdhsa_group_segment_fixed_size 4096
		.amdhsa_private_segment_fixed_size 0
		.amdhsa_kernarg_size 16
		.amdhsa_user_sgpr_count 6
		.amdhsa_user_sgpr_private_segment_buffer 1
		.amdhsa_user_sgpr_dispatch_ptr 0
		.amdhsa_user_sgpr_queue_ptr 0
		.amdhsa_user_sgpr_kernarg_segment_ptr 1
		.amdhsa_user_sgpr_dispatch_id 0
		.amdhsa_user_sgpr_flat_scratch_init 0
		.amdhsa_user_sgpr_kernarg_preload_length 0
		.amdhsa_user_sgpr_kernarg_preload_offset 0
		.amdhsa_user_sgpr_private_segment_size 0
		.amdhsa_uses_dynamic_stack 0
		.amdhsa_system_sgpr_private_segment_wavefront_offset 0
		.amdhsa_system_sgpr_workgroup_id_x 1
		.amdhsa_system_sgpr_workgroup_id_y 0
		.amdhsa_system_sgpr_workgroup_id_z 0
		.amdhsa_system_sgpr_workgroup_info 0
		.amdhsa_system_vgpr_workitem_id 0
		.amdhsa_next_free_vgpr 18
		.amdhsa_next_free_sgpr 8
		.amdhsa_accum_offset 20
		.amdhsa_reserve_vcc 1
		.amdhsa_reserve_flat_scratch 0
		.amdhsa_float_round_mode_32 0
		.amdhsa_float_round_mode_16_64 0
		.amdhsa_float_denorm_mode_32 3
		.amdhsa_float_denorm_mode_16_64 3
		.amdhsa_dx10_clamp 1
		.amdhsa_ieee_mode 1
		.amdhsa_fp16_overflow 0
		.amdhsa_tg_split 0
		.amdhsa_exception_fp_ieee_invalid_op 0
		.amdhsa_exception_fp_denorm_src 0
		.amdhsa_exception_fp_ieee_div_zero 0
		.amdhsa_exception_fp_ieee_overflow 0
		.amdhsa_exception_fp_ieee_underflow 0
		.amdhsa_exception_fp_ieee_inexact 0
		.amdhsa_exception_int_div_zero 0
	.end_amdhsa_kernel
	.section	.text._Z13reduce_kernelILj1024ELN6hipcub20BlockReduceAlgorithmE1EiEvPT1_S3_,"axG",@progbits,_Z13reduce_kernelILj1024ELN6hipcub20BlockReduceAlgorithmE1EiEvPT1_S3_,comdat
.Lfunc_end18:
	.size	_Z13reduce_kernelILj1024ELN6hipcub20BlockReduceAlgorithmE1EiEvPT1_S3_, .Lfunc_end18-_Z13reduce_kernelILj1024ELN6hipcub20BlockReduceAlgorithmE1EiEvPT1_S3_
                                        ; -- End function
	.section	.AMDGPU.csdata,"",@progbits
; Kernel info:
; codeLenInByte = 408
; NumSgprs: 12
; NumVgprs: 18
; NumAgprs: 0
; TotalNumVgprs: 18
; ScratchSize: 0
; MemoryBound: 0
; FloatMode: 240
; IeeeMode: 1
; LDSByteSize: 4096 bytes/workgroup (compile time only)
; SGPRBlocks: 1
; VGPRBlocks: 2
; NumSGPRsForWavesPerEU: 12
; NumVGPRsForWavesPerEU: 18
; AccumOffset: 20
; Occupancy: 8
; WaveLimiterHint : 0
; COMPUTE_PGM_RSRC2:SCRATCH_EN: 0
; COMPUTE_PGM_RSRC2:USER_SGPR: 6
; COMPUTE_PGM_RSRC2:TRAP_HANDLER: 0
; COMPUTE_PGM_RSRC2:TGID_X_EN: 1
; COMPUTE_PGM_RSRC2:TGID_Y_EN: 0
; COMPUTE_PGM_RSRC2:TGID_Z_EN: 0
; COMPUTE_PGM_RSRC2:TIDIG_COMP_CNT: 0
; COMPUTE_PGM_RSRC3_GFX90A:ACCUM_OFFSET: 4
; COMPUTE_PGM_RSRC3_GFX90A:TG_SPLIT: 0
	.section	.text._Z13reduce_kernelILj512ELN6hipcub20BlockReduceAlgorithmE1EiEvPT1_S3_,"axG",@progbits,_Z13reduce_kernelILj512ELN6hipcub20BlockReduceAlgorithmE1EiEvPT1_S3_,comdat
	.protected	_Z13reduce_kernelILj512ELN6hipcub20BlockReduceAlgorithmE1EiEvPT1_S3_ ; -- Begin function _Z13reduce_kernelILj512ELN6hipcub20BlockReduceAlgorithmE1EiEvPT1_S3_
	.globl	_Z13reduce_kernelILj512ELN6hipcub20BlockReduceAlgorithmE1EiEvPT1_S3_
	.p2align	8
	.type	_Z13reduce_kernelILj512ELN6hipcub20BlockReduceAlgorithmE1EiEvPT1_S3_,@function
_Z13reduce_kernelILj512ELN6hipcub20BlockReduceAlgorithmE1EiEvPT1_S3_: ; @_Z13reduce_kernelILj512ELN6hipcub20BlockReduceAlgorithmE1EiEvPT1_S3_
; %bb.0:
	s_load_dwordx4 s[0:3], s[4:5], 0x0
	v_lshl_or_b32 v2, s6, 9, v0
	v_mov_b32_e32 v3, 0
	v_lshlrev_b64 v[2:3], 2, v[2:3]
	s_waitcnt lgkmcnt(0)
	v_mov_b32_e32 v1, s1
	v_add_co_u32_e32 v2, vcc, s0, v2
	v_addc_co_u32_e32 v3, vcc, v1, v3, vcc
	global_load_dword v1, v[2:3], off
	v_lshlrev_b32_e32 v2, 2, v0
	v_cmp_gt_u32_e32 vcc, 64, v0
	s_waitcnt vmcnt(0)
	ds_write_b32 v2, v1
	s_waitcnt lgkmcnt(0)
	s_barrier
	s_and_saveexec_b64 s[0:1], vcc
	s_cbranch_execz .LBB19_2
; %bb.1:
	v_lshlrev_b32_e32 v1, 5, v0
	ds_read2_b32 v[2:3], v1 offset0:6 offset1:7
	ds_read2_b32 v[4:5], v1 offset0:4 offset1:5
	ds_read2_b32 v[6:7], v1 offset0:2 offset1:3
	ds_read2_b32 v[8:9], v1 offset1:1
	s_waitcnt lgkmcnt(1)
	v_add_u32_e32 v3, v7, v3
	v_add_u32_e32 v1, v6, v2
	s_waitcnt lgkmcnt(0)
	v_add_u32_e32 v2, v8, v4
	v_add3_u32 v3, v9, v5, v3
	v_add3_u32 v1, v2, v1, v3
	v_bfrev_b32_e32 v3, 0.5
	s_nop 0
	v_mov_b32_dpp v2, v1 quad_perm:[1,0,3,2] row_mask:0xf bank_mask:0xf
	v_add_u32_e32 v1, v2, v1
	s_nop 1
	v_mov_b32_dpp v2, v1 quad_perm:[2,3,0,1] row_mask:0xf bank_mask:0xf
	v_add_u32_e32 v1, v1, v2
	s_nop 1
	v_mov_b32_dpp v2, v1 row_ror:4 row_mask:0xf bank_mask:0xf
	v_add_u32_e32 v1, v1, v2
	s_nop 1
	v_mov_b32_dpp v2, v1 row_ror:8 row_mask:0xf bank_mask:0xf
	v_add_u32_e32 v1, v1, v2
	s_nop 1
	v_mov_b32_dpp v2, v1 row_bcast:15 row_mask:0xf bank_mask:0xf
	v_add_u32_e32 v1, v1, v2
	s_nop 1
	v_mov_b32_dpp v2, v1 row_bcast:31 row_mask:0xf bank_mask:0xf
	v_add_u32_e32 v1, v1, v2
	v_mbcnt_lo_u32_b32 v2, -1, 0
	v_mbcnt_hi_u32_b32 v2, -1, v2
	v_lshl_or_b32 v2, v2, 2, v3
	ds_bpermute_b32 v1, v2, v1
.LBB19_2:
	s_or_b64 exec, exec, s[0:1]
	s_mov_b32 s7, 0
	v_cmp_eq_u32_e32 vcc, 0, v0
	s_and_saveexec_b64 s[0:1], vcc
	s_cbranch_execz .LBB19_4
; %bb.3:
	s_lshl_b64 s[0:1], s[6:7], 2
	s_add_u32 s0, s2, s0
	s_addc_u32 s1, s3, s1
	v_mov_b32_e32 v0, 0
	s_waitcnt lgkmcnt(0)
	global_store_dword v0, v1, s[0:1]
.LBB19_4:
	s_endpgm
	.section	.rodata,"a",@progbits
	.p2align	6, 0x0
	.amdhsa_kernel _Z13reduce_kernelILj512ELN6hipcub20BlockReduceAlgorithmE1EiEvPT1_S3_
		.amdhsa_group_segment_fixed_size 2048
		.amdhsa_private_segment_fixed_size 0
		.amdhsa_kernarg_size 16
		.amdhsa_user_sgpr_count 6
		.amdhsa_user_sgpr_private_segment_buffer 1
		.amdhsa_user_sgpr_dispatch_ptr 0
		.amdhsa_user_sgpr_queue_ptr 0
		.amdhsa_user_sgpr_kernarg_segment_ptr 1
		.amdhsa_user_sgpr_dispatch_id 0
		.amdhsa_user_sgpr_flat_scratch_init 0
		.amdhsa_user_sgpr_kernarg_preload_length 0
		.amdhsa_user_sgpr_kernarg_preload_offset 0
		.amdhsa_user_sgpr_private_segment_size 0
		.amdhsa_uses_dynamic_stack 0
		.amdhsa_system_sgpr_private_segment_wavefront_offset 0
		.amdhsa_system_sgpr_workgroup_id_x 1
		.amdhsa_system_sgpr_workgroup_id_y 0
		.amdhsa_system_sgpr_workgroup_id_z 0
		.amdhsa_system_sgpr_workgroup_info 0
		.amdhsa_system_vgpr_workitem_id 0
		.amdhsa_next_free_vgpr 10
		.amdhsa_next_free_sgpr 8
		.amdhsa_accum_offset 12
		.amdhsa_reserve_vcc 1
		.amdhsa_reserve_flat_scratch 0
		.amdhsa_float_round_mode_32 0
		.amdhsa_float_round_mode_16_64 0
		.amdhsa_float_denorm_mode_32 3
		.amdhsa_float_denorm_mode_16_64 3
		.amdhsa_dx10_clamp 1
		.amdhsa_ieee_mode 1
		.amdhsa_fp16_overflow 0
		.amdhsa_tg_split 0
		.amdhsa_exception_fp_ieee_invalid_op 0
		.amdhsa_exception_fp_denorm_src 0
		.amdhsa_exception_fp_ieee_div_zero 0
		.amdhsa_exception_fp_ieee_overflow 0
		.amdhsa_exception_fp_ieee_underflow 0
		.amdhsa_exception_fp_ieee_inexact 0
		.amdhsa_exception_int_div_zero 0
	.end_amdhsa_kernel
	.section	.text._Z13reduce_kernelILj512ELN6hipcub20BlockReduceAlgorithmE1EiEvPT1_S3_,"axG",@progbits,_Z13reduce_kernelILj512ELN6hipcub20BlockReduceAlgorithmE1EiEvPT1_S3_,comdat
.Lfunc_end19:
	.size	_Z13reduce_kernelILj512ELN6hipcub20BlockReduceAlgorithmE1EiEvPT1_S3_, .Lfunc_end19-_Z13reduce_kernelILj512ELN6hipcub20BlockReduceAlgorithmE1EiEvPT1_S3_
                                        ; -- End function
	.section	.AMDGPU.csdata,"",@progbits
; Kernel info:
; codeLenInByte = 344
; NumSgprs: 12
; NumVgprs: 10
; NumAgprs: 0
; TotalNumVgprs: 10
; ScratchSize: 0
; MemoryBound: 0
; FloatMode: 240
; IeeeMode: 1
; LDSByteSize: 2048 bytes/workgroup (compile time only)
; SGPRBlocks: 1
; VGPRBlocks: 1
; NumSGPRsForWavesPerEU: 12
; NumVGPRsForWavesPerEU: 10
; AccumOffset: 12
; Occupancy: 8
; WaveLimiterHint : 0
; COMPUTE_PGM_RSRC2:SCRATCH_EN: 0
; COMPUTE_PGM_RSRC2:USER_SGPR: 6
; COMPUTE_PGM_RSRC2:TRAP_HANDLER: 0
; COMPUTE_PGM_RSRC2:TGID_X_EN: 1
; COMPUTE_PGM_RSRC2:TGID_Y_EN: 0
; COMPUTE_PGM_RSRC2:TGID_Z_EN: 0
; COMPUTE_PGM_RSRC2:TIDIG_COMP_CNT: 0
; COMPUTE_PGM_RSRC3_GFX90A:ACCUM_OFFSET: 2
; COMPUTE_PGM_RSRC3_GFX90A:TG_SPLIT: 0
	.section	.text._Z13reduce_kernelILj256ELN6hipcub20BlockReduceAlgorithmE1EiEvPT1_S3_,"axG",@progbits,_Z13reduce_kernelILj256ELN6hipcub20BlockReduceAlgorithmE1EiEvPT1_S3_,comdat
	.protected	_Z13reduce_kernelILj256ELN6hipcub20BlockReduceAlgorithmE1EiEvPT1_S3_ ; -- Begin function _Z13reduce_kernelILj256ELN6hipcub20BlockReduceAlgorithmE1EiEvPT1_S3_
	.globl	_Z13reduce_kernelILj256ELN6hipcub20BlockReduceAlgorithmE1EiEvPT1_S3_
	.p2align	8
	.type	_Z13reduce_kernelILj256ELN6hipcub20BlockReduceAlgorithmE1EiEvPT1_S3_,@function
_Z13reduce_kernelILj256ELN6hipcub20BlockReduceAlgorithmE1EiEvPT1_S3_: ; @_Z13reduce_kernelILj256ELN6hipcub20BlockReduceAlgorithmE1EiEvPT1_S3_
; %bb.0:
	s_load_dwordx4 s[0:3], s[4:5], 0x0
	v_lshl_or_b32 v2, s6, 8, v0
	v_mov_b32_e32 v3, 0
	v_lshlrev_b64 v[2:3], 2, v[2:3]
	s_waitcnt lgkmcnt(0)
	v_mov_b32_e32 v1, s1
	v_add_co_u32_e32 v2, vcc, s0, v2
	v_addc_co_u32_e32 v3, vcc, v1, v3, vcc
	global_load_dword v1, v[2:3], off
	v_lshlrev_b32_e32 v2, 2, v0
	v_cmp_gt_u32_e32 vcc, 64, v0
	s_waitcnt vmcnt(0)
	ds_write_b32 v2, v1
	s_waitcnt lgkmcnt(0)
	s_barrier
	s_and_saveexec_b64 s[0:1], vcc
	s_cbranch_execz .LBB20_2
; %bb.1:
	v_lshlrev_b32_e32 v1, 4, v0
	ds_read2_b32 v[2:3], v1 offset0:2 offset1:3
	ds_read2_b32 v[4:5], v1 offset1:1
	v_mbcnt_lo_u32_b32 v1, -1, 0
	v_bfrev_b32_e32 v6, 0.5
	v_mbcnt_hi_u32_b32 v1, -1, v1
	v_lshl_or_b32 v1, v1, 2, v6
	s_waitcnt lgkmcnt(0)
	v_add_u32_e32 v3, v5, v3
	v_add3_u32 v2, v4, v2, v3
	s_nop 1
	v_mov_b32_dpp v3, v2 quad_perm:[1,0,3,2] row_mask:0xf bank_mask:0xf
	v_add_u32_e32 v2, v3, v2
	s_nop 1
	v_mov_b32_dpp v3, v2 quad_perm:[2,3,0,1] row_mask:0xf bank_mask:0xf
	v_add_u32_e32 v2, v2, v3
	s_nop 1
	v_mov_b32_dpp v3, v2 row_ror:4 row_mask:0xf bank_mask:0xf
	v_add_u32_e32 v2, v2, v3
	s_nop 1
	v_mov_b32_dpp v3, v2 row_ror:8 row_mask:0xf bank_mask:0xf
	v_add_u32_e32 v2, v2, v3
	s_nop 1
	v_mov_b32_dpp v3, v2 row_bcast:15 row_mask:0xf bank_mask:0xf
	v_add_u32_e32 v2, v2, v3
	s_nop 1
	v_mov_b32_dpp v3, v2 row_bcast:31 row_mask:0xf bank_mask:0xf
	v_add_u32_e32 v2, v2, v3
	ds_bpermute_b32 v1, v1, v2
.LBB20_2:
	s_or_b64 exec, exec, s[0:1]
	s_mov_b32 s7, 0
	v_cmp_eq_u32_e32 vcc, 0, v0
	s_and_saveexec_b64 s[0:1], vcc
	s_cbranch_execz .LBB20_4
; %bb.3:
	s_lshl_b64 s[0:1], s[6:7], 2
	s_add_u32 s0, s2, s0
	s_addc_u32 s1, s3, s1
	v_mov_b32_e32 v0, 0
	s_waitcnt lgkmcnt(0)
	global_store_dword v0, v1, s[0:1]
.LBB20_4:
	s_endpgm
	.section	.rodata,"a",@progbits
	.p2align	6, 0x0
	.amdhsa_kernel _Z13reduce_kernelILj256ELN6hipcub20BlockReduceAlgorithmE1EiEvPT1_S3_
		.amdhsa_group_segment_fixed_size 1024
		.amdhsa_private_segment_fixed_size 0
		.amdhsa_kernarg_size 16
		.amdhsa_user_sgpr_count 6
		.amdhsa_user_sgpr_private_segment_buffer 1
		.amdhsa_user_sgpr_dispatch_ptr 0
		.amdhsa_user_sgpr_queue_ptr 0
		.amdhsa_user_sgpr_kernarg_segment_ptr 1
		.amdhsa_user_sgpr_dispatch_id 0
		.amdhsa_user_sgpr_flat_scratch_init 0
		.amdhsa_user_sgpr_kernarg_preload_length 0
		.amdhsa_user_sgpr_kernarg_preload_offset 0
		.amdhsa_user_sgpr_private_segment_size 0
		.amdhsa_uses_dynamic_stack 0
		.amdhsa_system_sgpr_private_segment_wavefront_offset 0
		.amdhsa_system_sgpr_workgroup_id_x 1
		.amdhsa_system_sgpr_workgroup_id_y 0
		.amdhsa_system_sgpr_workgroup_id_z 0
		.amdhsa_system_sgpr_workgroup_info 0
		.amdhsa_system_vgpr_workitem_id 0
		.amdhsa_next_free_vgpr 7
		.amdhsa_next_free_sgpr 8
		.amdhsa_accum_offset 8
		.amdhsa_reserve_vcc 1
		.amdhsa_reserve_flat_scratch 0
		.amdhsa_float_round_mode_32 0
		.amdhsa_float_round_mode_16_64 0
		.amdhsa_float_denorm_mode_32 3
		.amdhsa_float_denorm_mode_16_64 3
		.amdhsa_dx10_clamp 1
		.amdhsa_ieee_mode 1
		.amdhsa_fp16_overflow 0
		.amdhsa_tg_split 0
		.amdhsa_exception_fp_ieee_invalid_op 0
		.amdhsa_exception_fp_denorm_src 0
		.amdhsa_exception_fp_ieee_div_zero 0
		.amdhsa_exception_fp_ieee_overflow 0
		.amdhsa_exception_fp_ieee_underflow 0
		.amdhsa_exception_fp_ieee_inexact 0
		.amdhsa_exception_int_div_zero 0
	.end_amdhsa_kernel
	.section	.text._Z13reduce_kernelILj256ELN6hipcub20BlockReduceAlgorithmE1EiEvPT1_S3_,"axG",@progbits,_Z13reduce_kernelILj256ELN6hipcub20BlockReduceAlgorithmE1EiEvPT1_S3_,comdat
.Lfunc_end20:
	.size	_Z13reduce_kernelILj256ELN6hipcub20BlockReduceAlgorithmE1EiEvPT1_S3_, .Lfunc_end20-_Z13reduce_kernelILj256ELN6hipcub20BlockReduceAlgorithmE1EiEvPT1_S3_
                                        ; -- End function
	.section	.AMDGPU.csdata,"",@progbits
; Kernel info:
; codeLenInByte = 308
; NumSgprs: 12
; NumVgprs: 7
; NumAgprs: 0
; TotalNumVgprs: 7
; ScratchSize: 0
; MemoryBound: 0
; FloatMode: 240
; IeeeMode: 1
; LDSByteSize: 1024 bytes/workgroup (compile time only)
; SGPRBlocks: 1
; VGPRBlocks: 0
; NumSGPRsForWavesPerEU: 12
; NumVGPRsForWavesPerEU: 7
; AccumOffset: 8
; Occupancy: 8
; WaveLimiterHint : 0
; COMPUTE_PGM_RSRC2:SCRATCH_EN: 0
; COMPUTE_PGM_RSRC2:USER_SGPR: 6
; COMPUTE_PGM_RSRC2:TRAP_HANDLER: 0
; COMPUTE_PGM_RSRC2:TGID_X_EN: 1
; COMPUTE_PGM_RSRC2:TGID_Y_EN: 0
; COMPUTE_PGM_RSRC2:TGID_Z_EN: 0
; COMPUTE_PGM_RSRC2:TIDIG_COMP_CNT: 0
; COMPUTE_PGM_RSRC3_GFX90A:ACCUM_OFFSET: 1
; COMPUTE_PGM_RSRC3_GFX90A:TG_SPLIT: 0
	.section	.text._Z13reduce_kernelILj192ELN6hipcub20BlockReduceAlgorithmE1EiEvPT1_S3_,"axG",@progbits,_Z13reduce_kernelILj192ELN6hipcub20BlockReduceAlgorithmE1EiEvPT1_S3_,comdat
	.protected	_Z13reduce_kernelILj192ELN6hipcub20BlockReduceAlgorithmE1EiEvPT1_S3_ ; -- Begin function _Z13reduce_kernelILj192ELN6hipcub20BlockReduceAlgorithmE1EiEvPT1_S3_
	.globl	_Z13reduce_kernelILj192ELN6hipcub20BlockReduceAlgorithmE1EiEvPT1_S3_
	.p2align	8
	.type	_Z13reduce_kernelILj192ELN6hipcub20BlockReduceAlgorithmE1EiEvPT1_S3_,@function
_Z13reduce_kernelILj192ELN6hipcub20BlockReduceAlgorithmE1EiEvPT1_S3_: ; @_Z13reduce_kernelILj192ELN6hipcub20BlockReduceAlgorithmE1EiEvPT1_S3_
; %bb.0:
	s_load_dwordx4 s[0:3], s[4:5], 0x0
	s_mul_i32 s4, s6, 0xc0
	v_add_u32_e32 v2, s4, v0
	v_mov_b32_e32 v3, 0
	v_lshlrev_b64 v[2:3], 2, v[2:3]
	s_waitcnt lgkmcnt(0)
	v_mov_b32_e32 v1, s1
	v_add_co_u32_e32 v2, vcc, s0, v2
	v_addc_co_u32_e32 v3, vcc, v1, v3, vcc
	global_load_dword v1, v[2:3], off
	v_lshlrev_b32_e32 v2, 2, v0
	v_cmp_gt_u32_e32 vcc, 64, v0
	s_waitcnt vmcnt(0)
	ds_write_b32 v2, v1
	s_waitcnt lgkmcnt(0)
	s_barrier
	s_and_saveexec_b64 s[0:1], vcc
	s_cbranch_execz .LBB21_2
; %bb.1:
	v_mul_u32_u24_e32 v1, 3, v0
	v_lshlrev_b32_e32 v1, 2, v1
	ds_read2_b32 v[2:3], v1 offset1:1
	ds_read_b32 v1, v1 offset:8
	v_mbcnt_lo_u32_b32 v4, -1, 0
	v_bfrev_b32_e32 v5, 0.5
	v_mbcnt_hi_u32_b32 v4, -1, v4
	s_waitcnt lgkmcnt(0)
	v_add3_u32 v1, v3, v2, v1
	s_nop 1
	v_mov_b32_dpp v2, v1 quad_perm:[1,0,3,2] row_mask:0xf bank_mask:0xf
	v_add_u32_e32 v1, v2, v1
	s_nop 1
	v_mov_b32_dpp v2, v1 quad_perm:[2,3,0,1] row_mask:0xf bank_mask:0xf
	v_add_u32_e32 v1, v1, v2
	s_nop 1
	v_mov_b32_dpp v2, v1 row_ror:4 row_mask:0xf bank_mask:0xf
	v_add_u32_e32 v1, v1, v2
	s_nop 1
	v_mov_b32_dpp v2, v1 row_ror:8 row_mask:0xf bank_mask:0xf
	v_add_u32_e32 v1, v1, v2
	s_nop 1
	v_mov_b32_dpp v2, v1 row_bcast:15 row_mask:0xf bank_mask:0xf
	v_add_u32_e32 v1, v1, v2
	s_nop 1
	v_mov_b32_dpp v2, v1 row_bcast:31 row_mask:0xf bank_mask:0xf
	v_add_u32_e32 v1, v1, v2
	v_lshl_or_b32 v2, v4, 2, v5
	ds_bpermute_b32 v1, v2, v1
.LBB21_2:
	s_or_b64 exec, exec, s[0:1]
	s_mov_b32 s7, 0
	v_cmp_eq_u32_e32 vcc, 0, v0
	s_and_saveexec_b64 s[0:1], vcc
	s_cbranch_execz .LBB21_4
; %bb.3:
	s_lshl_b64 s[0:1], s[6:7], 2
	s_add_u32 s0, s2, s0
	s_addc_u32 s1, s3, s1
	v_mov_b32_e32 v0, 0
	s_waitcnt lgkmcnt(0)
	global_store_dword v0, v1, s[0:1]
.LBB21_4:
	s_endpgm
	.section	.rodata,"a",@progbits
	.p2align	6, 0x0
	.amdhsa_kernel _Z13reduce_kernelILj192ELN6hipcub20BlockReduceAlgorithmE1EiEvPT1_S3_
		.amdhsa_group_segment_fixed_size 768
		.amdhsa_private_segment_fixed_size 0
		.amdhsa_kernarg_size 16
		.amdhsa_user_sgpr_count 6
		.amdhsa_user_sgpr_private_segment_buffer 1
		.amdhsa_user_sgpr_dispatch_ptr 0
		.amdhsa_user_sgpr_queue_ptr 0
		.amdhsa_user_sgpr_kernarg_segment_ptr 1
		.amdhsa_user_sgpr_dispatch_id 0
		.amdhsa_user_sgpr_flat_scratch_init 0
		.amdhsa_user_sgpr_kernarg_preload_length 0
		.amdhsa_user_sgpr_kernarg_preload_offset 0
		.amdhsa_user_sgpr_private_segment_size 0
		.amdhsa_uses_dynamic_stack 0
		.amdhsa_system_sgpr_private_segment_wavefront_offset 0
		.amdhsa_system_sgpr_workgroup_id_x 1
		.amdhsa_system_sgpr_workgroup_id_y 0
		.amdhsa_system_sgpr_workgroup_id_z 0
		.amdhsa_system_sgpr_workgroup_info 0
		.amdhsa_system_vgpr_workitem_id 0
		.amdhsa_next_free_vgpr 6
		.amdhsa_next_free_sgpr 8
		.amdhsa_accum_offset 8
		.amdhsa_reserve_vcc 1
		.amdhsa_reserve_flat_scratch 0
		.amdhsa_float_round_mode_32 0
		.amdhsa_float_round_mode_16_64 0
		.amdhsa_float_denorm_mode_32 3
		.amdhsa_float_denorm_mode_16_64 3
		.amdhsa_dx10_clamp 1
		.amdhsa_ieee_mode 1
		.amdhsa_fp16_overflow 0
		.amdhsa_tg_split 0
		.amdhsa_exception_fp_ieee_invalid_op 0
		.amdhsa_exception_fp_denorm_src 0
		.amdhsa_exception_fp_ieee_div_zero 0
		.amdhsa_exception_fp_ieee_overflow 0
		.amdhsa_exception_fp_ieee_underflow 0
		.amdhsa_exception_fp_ieee_inexact 0
		.amdhsa_exception_int_div_zero 0
	.end_amdhsa_kernel
	.section	.text._Z13reduce_kernelILj192ELN6hipcub20BlockReduceAlgorithmE1EiEvPT1_S3_,"axG",@progbits,_Z13reduce_kernelILj192ELN6hipcub20BlockReduceAlgorithmE1EiEvPT1_S3_,comdat
.Lfunc_end21:
	.size	_Z13reduce_kernelILj192ELN6hipcub20BlockReduceAlgorithmE1EiEvPT1_S3_, .Lfunc_end21-_Z13reduce_kernelILj192ELN6hipcub20BlockReduceAlgorithmE1EiEvPT1_S3_
                                        ; -- End function
	.section	.AMDGPU.csdata,"",@progbits
; Kernel info:
; codeLenInByte = 312
; NumSgprs: 12
; NumVgprs: 6
; NumAgprs: 0
; TotalNumVgprs: 6
; ScratchSize: 0
; MemoryBound: 0
; FloatMode: 240
; IeeeMode: 1
; LDSByteSize: 768 bytes/workgroup (compile time only)
; SGPRBlocks: 1
; VGPRBlocks: 0
; NumSGPRsForWavesPerEU: 12
; NumVGPRsForWavesPerEU: 6
; AccumOffset: 8
; Occupancy: 8
; WaveLimiterHint : 0
; COMPUTE_PGM_RSRC2:SCRATCH_EN: 0
; COMPUTE_PGM_RSRC2:USER_SGPR: 6
; COMPUTE_PGM_RSRC2:TRAP_HANDLER: 0
; COMPUTE_PGM_RSRC2:TGID_X_EN: 1
; COMPUTE_PGM_RSRC2:TGID_Y_EN: 0
; COMPUTE_PGM_RSRC2:TGID_Z_EN: 0
; COMPUTE_PGM_RSRC2:TIDIG_COMP_CNT: 0
; COMPUTE_PGM_RSRC3_GFX90A:ACCUM_OFFSET: 1
; COMPUTE_PGM_RSRC3_GFX90A:TG_SPLIT: 0
	.section	.text._Z13reduce_kernelILj128ELN6hipcub20BlockReduceAlgorithmE1EiEvPT1_S3_,"axG",@progbits,_Z13reduce_kernelILj128ELN6hipcub20BlockReduceAlgorithmE1EiEvPT1_S3_,comdat
	.protected	_Z13reduce_kernelILj128ELN6hipcub20BlockReduceAlgorithmE1EiEvPT1_S3_ ; -- Begin function _Z13reduce_kernelILj128ELN6hipcub20BlockReduceAlgorithmE1EiEvPT1_S3_
	.globl	_Z13reduce_kernelILj128ELN6hipcub20BlockReduceAlgorithmE1EiEvPT1_S3_
	.p2align	8
	.type	_Z13reduce_kernelILj128ELN6hipcub20BlockReduceAlgorithmE1EiEvPT1_S3_,@function
_Z13reduce_kernelILj128ELN6hipcub20BlockReduceAlgorithmE1EiEvPT1_S3_: ; @_Z13reduce_kernelILj128ELN6hipcub20BlockReduceAlgorithmE1EiEvPT1_S3_
; %bb.0:
	s_load_dwordx4 s[0:3], s[4:5], 0x0
	v_lshl_or_b32 v2, s6, 7, v0
	v_mov_b32_e32 v3, 0
	v_lshlrev_b64 v[2:3], 2, v[2:3]
	s_waitcnt lgkmcnt(0)
	v_mov_b32_e32 v1, s1
	v_add_co_u32_e32 v2, vcc, s0, v2
	v_addc_co_u32_e32 v3, vcc, v1, v3, vcc
	global_load_dword v1, v[2:3], off
	v_lshlrev_b32_e32 v2, 2, v0
	v_cmp_gt_u32_e32 vcc, 64, v0
	s_waitcnt vmcnt(0)
	ds_write_b32 v2, v1
	s_waitcnt lgkmcnt(0)
	s_barrier
	s_and_saveexec_b64 s[0:1], vcc
	s_cbranch_execz .LBB22_2
; %bb.1:
	v_lshlrev_b32_e32 v1, 3, v0
	ds_read2_b32 v[2:3], v1 offset1:1
	v_mbcnt_lo_u32_b32 v1, -1, 0
	v_bfrev_b32_e32 v4, 0.5
	v_mbcnt_hi_u32_b32 v1, -1, v1
	v_lshl_or_b32 v1, v1, 2, v4
	s_waitcnt lgkmcnt(0)
	v_add_u32_e32 v2, v3, v2
	s_nop 1
	v_mov_b32_dpp v3, v2 quad_perm:[1,0,3,2] row_mask:0xf bank_mask:0xf
	v_add_u32_e32 v2, v3, v2
	s_nop 1
	v_mov_b32_dpp v3, v2 quad_perm:[2,3,0,1] row_mask:0xf bank_mask:0xf
	v_add_u32_e32 v2, v2, v3
	s_nop 1
	v_mov_b32_dpp v3, v2 row_ror:4 row_mask:0xf bank_mask:0xf
	v_add_u32_e32 v2, v2, v3
	s_nop 1
	v_mov_b32_dpp v3, v2 row_ror:8 row_mask:0xf bank_mask:0xf
	v_add_u32_e32 v2, v2, v3
	s_nop 1
	v_mov_b32_dpp v3, v2 row_bcast:15 row_mask:0xf bank_mask:0xf
	v_add_u32_e32 v2, v2, v3
	s_nop 1
	v_mov_b32_dpp v3, v2 row_bcast:31 row_mask:0xf bank_mask:0xf
	v_add_u32_e32 v2, v2, v3
	ds_bpermute_b32 v1, v1, v2
.LBB22_2:
	s_or_b64 exec, exec, s[0:1]
	s_mov_b32 s7, 0
	v_cmp_eq_u32_e32 vcc, 0, v0
	s_and_saveexec_b64 s[0:1], vcc
	s_cbranch_execz .LBB22_4
; %bb.3:
	s_lshl_b64 s[0:1], s[6:7], 2
	s_add_u32 s0, s2, s0
	s_addc_u32 s1, s3, s1
	v_mov_b32_e32 v0, 0
	s_waitcnt lgkmcnt(0)
	global_store_dword v0, v1, s[0:1]
.LBB22_4:
	s_endpgm
	.section	.rodata,"a",@progbits
	.p2align	6, 0x0
	.amdhsa_kernel _Z13reduce_kernelILj128ELN6hipcub20BlockReduceAlgorithmE1EiEvPT1_S3_
		.amdhsa_group_segment_fixed_size 512
		.amdhsa_private_segment_fixed_size 0
		.amdhsa_kernarg_size 16
		.amdhsa_user_sgpr_count 6
		.amdhsa_user_sgpr_private_segment_buffer 1
		.amdhsa_user_sgpr_dispatch_ptr 0
		.amdhsa_user_sgpr_queue_ptr 0
		.amdhsa_user_sgpr_kernarg_segment_ptr 1
		.amdhsa_user_sgpr_dispatch_id 0
		.amdhsa_user_sgpr_flat_scratch_init 0
		.amdhsa_user_sgpr_kernarg_preload_length 0
		.amdhsa_user_sgpr_kernarg_preload_offset 0
		.amdhsa_user_sgpr_private_segment_size 0
		.amdhsa_uses_dynamic_stack 0
		.amdhsa_system_sgpr_private_segment_wavefront_offset 0
		.amdhsa_system_sgpr_workgroup_id_x 1
		.amdhsa_system_sgpr_workgroup_id_y 0
		.amdhsa_system_sgpr_workgroup_id_z 0
		.amdhsa_system_sgpr_workgroup_info 0
		.amdhsa_system_vgpr_workitem_id 0
		.amdhsa_next_free_vgpr 5
		.amdhsa_next_free_sgpr 8
		.amdhsa_accum_offset 8
		.amdhsa_reserve_vcc 1
		.amdhsa_reserve_flat_scratch 0
		.amdhsa_float_round_mode_32 0
		.amdhsa_float_round_mode_16_64 0
		.amdhsa_float_denorm_mode_32 3
		.amdhsa_float_denorm_mode_16_64 3
		.amdhsa_dx10_clamp 1
		.amdhsa_ieee_mode 1
		.amdhsa_fp16_overflow 0
		.amdhsa_tg_split 0
		.amdhsa_exception_fp_ieee_invalid_op 0
		.amdhsa_exception_fp_denorm_src 0
		.amdhsa_exception_fp_ieee_div_zero 0
		.amdhsa_exception_fp_ieee_overflow 0
		.amdhsa_exception_fp_ieee_underflow 0
		.amdhsa_exception_fp_ieee_inexact 0
		.amdhsa_exception_int_div_zero 0
	.end_amdhsa_kernel
	.section	.text._Z13reduce_kernelILj128ELN6hipcub20BlockReduceAlgorithmE1EiEvPT1_S3_,"axG",@progbits,_Z13reduce_kernelILj128ELN6hipcub20BlockReduceAlgorithmE1EiEvPT1_S3_,comdat
.Lfunc_end22:
	.size	_Z13reduce_kernelILj128ELN6hipcub20BlockReduceAlgorithmE1EiEvPT1_S3_, .Lfunc_end22-_Z13reduce_kernelILj128ELN6hipcub20BlockReduceAlgorithmE1EiEvPT1_S3_
                                        ; -- End function
	.section	.AMDGPU.csdata,"",@progbits
; Kernel info:
; codeLenInByte = 292
; NumSgprs: 12
; NumVgprs: 5
; NumAgprs: 0
; TotalNumVgprs: 5
; ScratchSize: 0
; MemoryBound: 0
; FloatMode: 240
; IeeeMode: 1
; LDSByteSize: 512 bytes/workgroup (compile time only)
; SGPRBlocks: 1
; VGPRBlocks: 0
; NumSGPRsForWavesPerEU: 12
; NumVGPRsForWavesPerEU: 5
; AccumOffset: 8
; Occupancy: 8
; WaveLimiterHint : 0
; COMPUTE_PGM_RSRC2:SCRATCH_EN: 0
; COMPUTE_PGM_RSRC2:USER_SGPR: 6
; COMPUTE_PGM_RSRC2:TRAP_HANDLER: 0
; COMPUTE_PGM_RSRC2:TGID_X_EN: 1
; COMPUTE_PGM_RSRC2:TGID_Y_EN: 0
; COMPUTE_PGM_RSRC2:TGID_Z_EN: 0
; COMPUTE_PGM_RSRC2:TIDIG_COMP_CNT: 0
; COMPUTE_PGM_RSRC3_GFX90A:ACCUM_OFFSET: 1
; COMPUTE_PGM_RSRC3_GFX90A:TG_SPLIT: 0
	.section	.text._Z13reduce_kernelILj64ELN6hipcub20BlockReduceAlgorithmE1EiEvPT1_S3_,"axG",@progbits,_Z13reduce_kernelILj64ELN6hipcub20BlockReduceAlgorithmE1EiEvPT1_S3_,comdat
	.protected	_Z13reduce_kernelILj64ELN6hipcub20BlockReduceAlgorithmE1EiEvPT1_S3_ ; -- Begin function _Z13reduce_kernelILj64ELN6hipcub20BlockReduceAlgorithmE1EiEvPT1_S3_
	.globl	_Z13reduce_kernelILj64ELN6hipcub20BlockReduceAlgorithmE1EiEvPT1_S3_
	.p2align	8
	.type	_Z13reduce_kernelILj64ELN6hipcub20BlockReduceAlgorithmE1EiEvPT1_S3_,@function
_Z13reduce_kernelILj64ELN6hipcub20BlockReduceAlgorithmE1EiEvPT1_S3_: ; @_Z13reduce_kernelILj64ELN6hipcub20BlockReduceAlgorithmE1EiEvPT1_S3_
; %bb.0:
	s_load_dwordx4 s[0:3], s[4:5], 0x0
	v_lshl_or_b32 v2, s6, 6, v0
	v_mov_b32_e32 v3, 0
	v_lshlrev_b64 v[2:3], 2, v[2:3]
	s_waitcnt lgkmcnt(0)
	v_mov_b32_e32 v1, s1
	v_add_co_u32_e32 v2, vcc, s0, v2
	v_addc_co_u32_e32 v3, vcc, v1, v3, vcc
	global_load_dword v1, v[2:3], off
	v_lshlrev_b32_e32 v2, 2, v0
	v_cmp_gt_u32_e32 vcc, 64, v0
	s_waitcnt vmcnt(0)
	ds_write_b32 v2, v1
	s_waitcnt lgkmcnt(0)
	; wave barrier
	s_waitcnt lgkmcnt(0)
	s_and_saveexec_b64 s[0:1], vcc
	s_cbranch_execz .LBB23_2
; %bb.1:
	ds_read_b32 v1, v2
	v_mbcnt_lo_u32_b32 v2, -1, 0
	v_bfrev_b32_e32 v3, 0.5
	v_mbcnt_hi_u32_b32 v2, -1, v2
	v_lshl_or_b32 v2, v2, 2, v3
	s_waitcnt lgkmcnt(0)
	v_mov_b32_dpp v4, v1 quad_perm:[1,0,3,2] row_mask:0xf bank_mask:0xf
	v_add_u32_e32 v1, v4, v1
	s_nop 1
	v_mov_b32_dpp v4, v1 quad_perm:[2,3,0,1] row_mask:0xf bank_mask:0xf
	v_add_u32_e32 v1, v1, v4
	s_nop 1
	v_mov_b32_dpp v4, v1 row_ror:4 row_mask:0xf bank_mask:0xf
	v_add_u32_e32 v1, v1, v4
	s_nop 1
	v_mov_b32_dpp v4, v1 row_ror:8 row_mask:0xf bank_mask:0xf
	v_add_u32_e32 v1, v1, v4
	s_nop 1
	v_mov_b32_dpp v4, v1 row_bcast:15 row_mask:0xf bank_mask:0xf
	v_add_u32_e32 v1, v1, v4
	s_nop 1
	v_mov_b32_dpp v4, v1 row_bcast:31 row_mask:0xf bank_mask:0xf
	v_add_u32_e32 v1, v1, v4
	ds_bpermute_b32 v1, v2, v1
.LBB23_2:
	s_or_b64 exec, exec, s[0:1]
	s_mov_b32 s7, 0
	v_cmp_eq_u32_e32 vcc, 0, v0
	s_and_saveexec_b64 s[0:1], vcc
	s_cbranch_execz .LBB23_4
; %bb.3:
	s_lshl_b64 s[0:1], s[6:7], 2
	s_add_u32 s0, s2, s0
	s_addc_u32 s1, s3, s1
	v_mov_b32_e32 v0, 0
	s_waitcnt lgkmcnt(0)
	global_store_dword v0, v1, s[0:1]
.LBB23_4:
	s_endpgm
	.section	.rodata,"a",@progbits
	.p2align	6, 0x0
	.amdhsa_kernel _Z13reduce_kernelILj64ELN6hipcub20BlockReduceAlgorithmE1EiEvPT1_S3_
		.amdhsa_group_segment_fixed_size 256
		.amdhsa_private_segment_fixed_size 0
		.amdhsa_kernarg_size 16
		.amdhsa_user_sgpr_count 6
		.amdhsa_user_sgpr_private_segment_buffer 1
		.amdhsa_user_sgpr_dispatch_ptr 0
		.amdhsa_user_sgpr_queue_ptr 0
		.amdhsa_user_sgpr_kernarg_segment_ptr 1
		.amdhsa_user_sgpr_dispatch_id 0
		.amdhsa_user_sgpr_flat_scratch_init 0
		.amdhsa_user_sgpr_kernarg_preload_length 0
		.amdhsa_user_sgpr_kernarg_preload_offset 0
		.amdhsa_user_sgpr_private_segment_size 0
		.amdhsa_uses_dynamic_stack 0
		.amdhsa_system_sgpr_private_segment_wavefront_offset 0
		.amdhsa_system_sgpr_workgroup_id_x 1
		.amdhsa_system_sgpr_workgroup_id_y 0
		.amdhsa_system_sgpr_workgroup_id_z 0
		.amdhsa_system_sgpr_workgroup_info 0
		.amdhsa_system_vgpr_workitem_id 0
		.amdhsa_next_free_vgpr 5
		.amdhsa_next_free_sgpr 8
		.amdhsa_accum_offset 8
		.amdhsa_reserve_vcc 1
		.amdhsa_reserve_flat_scratch 0
		.amdhsa_float_round_mode_32 0
		.amdhsa_float_round_mode_16_64 0
		.amdhsa_float_denorm_mode_32 3
		.amdhsa_float_denorm_mode_16_64 3
		.amdhsa_dx10_clamp 1
		.amdhsa_ieee_mode 1
		.amdhsa_fp16_overflow 0
		.amdhsa_tg_split 0
		.amdhsa_exception_fp_ieee_invalid_op 0
		.amdhsa_exception_fp_denorm_src 0
		.amdhsa_exception_fp_ieee_div_zero 0
		.amdhsa_exception_fp_ieee_overflow 0
		.amdhsa_exception_fp_ieee_underflow 0
		.amdhsa_exception_fp_ieee_inexact 0
		.amdhsa_exception_int_div_zero 0
	.end_amdhsa_kernel
	.section	.text._Z13reduce_kernelILj64ELN6hipcub20BlockReduceAlgorithmE1EiEvPT1_S3_,"axG",@progbits,_Z13reduce_kernelILj64ELN6hipcub20BlockReduceAlgorithmE1EiEvPT1_S3_,comdat
.Lfunc_end23:
	.size	_Z13reduce_kernelILj64ELN6hipcub20BlockReduceAlgorithmE1EiEvPT1_S3_, .Lfunc_end23-_Z13reduce_kernelILj64ELN6hipcub20BlockReduceAlgorithmE1EiEvPT1_S3_
                                        ; -- End function
	.section	.AMDGPU.csdata,"",@progbits
; Kernel info:
; codeLenInByte = 280
; NumSgprs: 12
; NumVgprs: 5
; NumAgprs: 0
; TotalNumVgprs: 5
; ScratchSize: 0
; MemoryBound: 0
; FloatMode: 240
; IeeeMode: 1
; LDSByteSize: 256 bytes/workgroup (compile time only)
; SGPRBlocks: 1
; VGPRBlocks: 0
; NumSGPRsForWavesPerEU: 12
; NumVGPRsForWavesPerEU: 5
; AccumOffset: 8
; Occupancy: 8
; WaveLimiterHint : 0
; COMPUTE_PGM_RSRC2:SCRATCH_EN: 0
; COMPUTE_PGM_RSRC2:USER_SGPR: 6
; COMPUTE_PGM_RSRC2:TRAP_HANDLER: 0
; COMPUTE_PGM_RSRC2:TGID_X_EN: 1
; COMPUTE_PGM_RSRC2:TGID_Y_EN: 0
; COMPUTE_PGM_RSRC2:TGID_Z_EN: 0
; COMPUTE_PGM_RSRC2:TIDIG_COMP_CNT: 0
; COMPUTE_PGM_RSRC3_GFX90A:ACCUM_OFFSET: 1
; COMPUTE_PGM_RSRC3_GFX90A:TG_SPLIT: 0
	.section	.text._Z13reduce_kernelILj377ELN6hipcub20BlockReduceAlgorithmE0ElEvPT1_S3_,"axG",@progbits,_Z13reduce_kernelILj377ELN6hipcub20BlockReduceAlgorithmE0ElEvPT1_S3_,comdat
	.protected	_Z13reduce_kernelILj377ELN6hipcub20BlockReduceAlgorithmE0ElEvPT1_S3_ ; -- Begin function _Z13reduce_kernelILj377ELN6hipcub20BlockReduceAlgorithmE0ElEvPT1_S3_
	.globl	_Z13reduce_kernelILj377ELN6hipcub20BlockReduceAlgorithmE0ElEvPT1_S3_
	.p2align	8
	.type	_Z13reduce_kernelILj377ELN6hipcub20BlockReduceAlgorithmE0ElEvPT1_S3_,@function
_Z13reduce_kernelILj377ELN6hipcub20BlockReduceAlgorithmE0ElEvPT1_S3_: ; @_Z13reduce_kernelILj377ELN6hipcub20BlockReduceAlgorithmE0ElEvPT1_S3_
; %bb.0:
	s_load_dwordx4 s[0:3], s[4:5], 0x0
	s_mul_i32 s4, s6, 0x179
	v_add_u32_e32 v2, s4, v0
	v_mov_b32_e32 v3, 0
	v_lshlrev_b64 v[2:3], 3, v[2:3]
	s_waitcnt lgkmcnt(0)
	v_mov_b32_e32 v1, s1
	v_add_co_u32_e32 v2, vcc, s0, v2
	v_addc_co_u32_e32 v3, vcc, v1, v3, vcc
	global_load_dwordx2 v[2:3], v[2:3], off
	v_mbcnt_lo_u32_b32 v1, -1, 0
	s_movk_i32 s0, 0x180
	v_mbcnt_hi_u32_b32 v1, -1, v1
	v_and_b32_e32 v4, 0x1c0, v0
	v_sub_u32_e32 v4, 0x179, v4
	v_and_b32_e32 v5, 63, v1
	v_cmp_gt_u32_e32 vcc, s0, v0
	v_cndmask_b32_e32 v4, 0, v4, vcc
	v_cmp_ne_u32_e32 vcc, 63, v5
	v_addc_co_u32_e32 v12, vcc, 0, v1, vcc
	v_lshlrev_b32_e32 v12, 2, v12
	v_cmp_gt_u32_e32 vcc, 62, v5
	v_cndmask_b32_e64 v13, 0, 1, vcc
	v_cmp_gt_u32_e32 vcc, 60, v5
	v_cndmask_b32_e64 v14, 0, 1, vcc
	;; [unrolled: 2-line block ×5, first 2 shown]
	v_add_u32_e32 v6, 1, v1
	v_lshlrev_b32_e32 v13, 1, v13
	v_add_lshl_u32 v13, v13, v1, 2
	v_add_u32_e32 v7, 2, v1
	v_lshlrev_b32_e32 v14, 2, v14
	v_add_lshl_u32 v14, v14, v1, 2
	;; [unrolled: 3-line block ×5, first 2 shown]
	v_add_u32_e32 v11, 32, v1
	s_waitcnt vmcnt(0)
	ds_bpermute_b32 v17, v12, v2
	ds_bpermute_b32 v12, v12, v3
	s_waitcnt lgkmcnt(1)
	v_add_co_u32_e32 v17, vcc, v2, v17
	v_addc_co_u32_e32 v18, vcc, 0, v3, vcc
	v_add_co_u32_e32 v19, vcc, 0, v17
	s_waitcnt lgkmcnt(0)
	v_addc_co_u32_e32 v12, vcc, v12, v18, vcc
	v_cmp_lt_u32_e32 vcc, v6, v4
	v_cndmask_b32_e32 v6, v2, v17, vcc
	ds_bpermute_b32 v17, v13, v6
	v_cndmask_b32_e32 v12, v3, v12, vcc
	ds_bpermute_b32 v13, v13, v12
	v_cndmask_b32_e32 v18, v2, v19, vcc
	s_waitcnt lgkmcnt(1)
	v_add_co_u32_e64 v17, s[0:1], v17, v18
	s_waitcnt lgkmcnt(0)
	v_addc_co_u32_e64 v13, s[0:1], v13, v12, s[0:1]
	v_cmp_lt_u32_e64 s[0:1], v7, v4
	v_cndmask_b32_e64 v6, v6, v17, s[0:1]
	v_cndmask_b32_e64 v7, v12, v13, s[0:1]
	ds_bpermute_b32 v12, v14, v6
	ds_bpermute_b32 v14, v14, v7
	v_cndmask_b32_e64 v13, v18, v17, s[0:1]
	s_or_b64 s[0:1], vcc, s[0:1]
	s_waitcnt lgkmcnt(1)
	v_add_co_u32_e32 v12, vcc, v12, v13
	s_waitcnt lgkmcnt(0)
	v_addc_co_u32_e32 v14, vcc, v14, v7, vcc
	v_cmp_lt_u32_e32 vcc, v8, v4
	v_cndmask_b32_e32 v6, v6, v12, vcc
	v_cndmask_b32_e32 v7, v7, v14, vcc
	ds_bpermute_b32 v8, v15, v6
	v_cndmask_b32_e32 v12, v13, v12, vcc
	ds_bpermute_b32 v13, v15, v7
	s_or_b64 s[0:1], vcc, s[0:1]
	s_waitcnt lgkmcnt(1)
	v_add_co_u32_e32 v8, vcc, v8, v12
	s_waitcnt lgkmcnt(0)
	v_addc_co_u32_e32 v13, vcc, v13, v7, vcc
	v_cmp_lt_u32_e32 vcc, v9, v4
	v_cndmask_b32_e32 v6, v6, v8, vcc
	v_cndmask_b32_e32 v7, v7, v13, vcc
	ds_bpermute_b32 v9, v16, v6
	v_cndmask_b32_e32 v8, v12, v8, vcc
	ds_bpermute_b32 v12, v16, v7
	s_or_b64 s[0:1], vcc, s[0:1]
	s_waitcnt lgkmcnt(1)
	v_add_co_u32_e32 v9, vcc, v9, v8
	s_waitcnt lgkmcnt(0)
	v_addc_co_u32_e32 v12, vcc, v12, v7, vcc
	v_cmp_lt_u32_e32 vcc, v10, v4
	v_cndmask_b32_e32 v6, v6, v9, vcc
	v_cndmask_b32_e32 v7, v7, v12, vcc
	ds_bpermute_b32 v10, v5, v7
	ds_bpermute_b32 v5, v5, v6
	s_or_b64 s[4:5], vcc, s[0:1]
	v_cndmask_b32_e32 v6, v8, v9, vcc
	v_cmp_lt_u32_e32 vcc, v11, v4
	s_waitcnt lgkmcnt(1)
	v_cndmask_b32_e32 v4, 0, v10, vcc
	s_waitcnt lgkmcnt(0)
	v_cndmask_b32_e32 v5, 0, v5, vcc
	v_add_co_u32_e64 v5, s[0:1], v5, v6
	v_addc_co_u32_e64 v4, s[0:1], v4, v7, s[0:1]
	s_or_b64 vcc, vcc, s[4:5]
	v_cndmask_b32_e32 v3, v3, v4, vcc
	v_cndmask_b32_e32 v2, v2, v5, vcc
	v_cmp_eq_u32_e32 vcc, 0, v1
	s_and_saveexec_b64 s[0:1], vcc
	s_cbranch_execz .LBB24_2
; %bb.1:
	v_lshrrev_b32_e32 v4, 3, v0
	v_and_b32_e32 v4, 56, v4
	ds_write_b64 v4, v[2:3]
.LBB24_2:
	s_or_b64 exec, exec, s[0:1]
	v_cmp_gt_u32_e32 vcc, 64, v0
	s_waitcnt lgkmcnt(0)
	s_barrier
	s_and_saveexec_b64 s[4:5], vcc
	s_cbranch_execz .LBB24_6
; %bb.3:
	s_mov_b32 s0, 0x2aaaaaab
	v_mul_hi_u32 v2, v1, s0
	v_mul_u32_u24_e32 v2, 6, v2
	v_sub_u32_e32 v2, v1, v2
	v_lshlrev_b32_e32 v2, 3, v2
	ds_read_b64 v[2:3], v2
	v_and_b32_e32 v4, 7, v1
	v_cmp_ne_u32_e32 vcc, 7, v4
	v_addc_co_u32_e32 v5, vcc, 0, v1, vcc
	v_lshlrev_b32_e32 v5, 2, v5
	s_waitcnt lgkmcnt(0)
	ds_bpermute_b32 v6, v5, v2
	ds_bpermute_b32 v7, v5, v3
	v_cmp_gt_u32_e64 s[0:1], 5, v4
	s_waitcnt lgkmcnt(1)
	v_add_co_u32_e32 v8, vcc, v2, v6
	v_addc_co_u32_e32 v6, vcc, 0, v3, vcc
	v_add_co_u32_e32 v5, vcc, 0, v8
	s_waitcnt lgkmcnt(0)
	v_addc_co_u32_e32 v6, vcc, v7, v6, vcc
	v_cmp_gt_u32_e32 vcc, 6, v4
	v_cndmask_b32_e64 v7, 0, 1, vcc
	v_lshlrev_b32_e32 v7, 1, v7
	v_cndmask_b32_e64 v9, v2, v8, s[0:1]
	v_add_lshl_u32 v7, v7, v1, 2
	ds_bpermute_b32 v8, v7, v9
	v_cndmask_b32_e64 v10, v3, v6, s[0:1]
	ds_bpermute_b32 v11, v7, v10
	v_cndmask_b32_e64 v7, v2, v5, s[0:1]
	s_waitcnt lgkmcnt(1)
	v_add_co_u32_e32 v7, vcc, v8, v7
	s_waitcnt lgkmcnt(0)
	v_addc_co_u32_e32 v8, vcc, v11, v10, vcc
	v_cmp_gt_u32_e32 vcc, 4, v4
	v_cndmask_b32_e64 v11, 0, 1, vcc
	v_lshlrev_b32_e32 v11, 2, v11
	v_cndmask_b32_e32 v10, v10, v8, vcc
	v_cndmask_b32_e32 v9, v9, v7, vcc
	v_add_lshl_u32 v11, v11, v1, 2
	ds_bpermute_b32 v1, v11, v9
	ds_bpermute_b32 v9, v11, v10
	s_and_saveexec_b64 s[8:9], s[0:1]
	s_cbranch_execz .LBB24_5
; %bb.4:
	v_cndmask_b32_e32 v3, v6, v8, vcc
	v_cndmask_b32_e32 v2, v5, v7, vcc
	v_cmp_gt_u32_e32 vcc, 2, v4
	s_waitcnt lgkmcnt(1)
	v_cndmask_b32_e32 v1, 0, v1, vcc
	s_waitcnt lgkmcnt(0)
	v_cndmask_b32_e32 v4, 0, v9, vcc
	v_add_co_u32_e32 v2, vcc, v1, v2
	v_addc_co_u32_e32 v3, vcc, v4, v3, vcc
.LBB24_5:
	s_or_b64 exec, exec, s[8:9]
.LBB24_6:
	s_or_b64 exec, exec, s[4:5]
	s_mov_b32 s7, 0
	v_cmp_eq_u32_e32 vcc, 0, v0
	s_and_saveexec_b64 s[0:1], vcc
	s_cbranch_execz .LBB24_8
; %bb.7:
	s_lshl_b64 s[0:1], s[6:7], 3
	s_add_u32 s0, s2, s0
	s_addc_u32 s1, s3, s1
	v_mov_b32_e32 v0, 0
	global_store_dwordx2 v0, v[2:3], s[0:1]
.LBB24_8:
	s_endpgm
	.section	.rodata,"a",@progbits
	.p2align	6, 0x0
	.amdhsa_kernel _Z13reduce_kernelILj377ELN6hipcub20BlockReduceAlgorithmE0ElEvPT1_S3_
		.amdhsa_group_segment_fixed_size 48
		.amdhsa_private_segment_fixed_size 0
		.amdhsa_kernarg_size 16
		.amdhsa_user_sgpr_count 6
		.amdhsa_user_sgpr_private_segment_buffer 1
		.amdhsa_user_sgpr_dispatch_ptr 0
		.amdhsa_user_sgpr_queue_ptr 0
		.amdhsa_user_sgpr_kernarg_segment_ptr 1
		.amdhsa_user_sgpr_dispatch_id 0
		.amdhsa_user_sgpr_flat_scratch_init 0
		.amdhsa_user_sgpr_kernarg_preload_length 0
		.amdhsa_user_sgpr_kernarg_preload_offset 0
		.amdhsa_user_sgpr_private_segment_size 0
		.amdhsa_uses_dynamic_stack 0
		.amdhsa_system_sgpr_private_segment_wavefront_offset 0
		.amdhsa_system_sgpr_workgroup_id_x 1
		.amdhsa_system_sgpr_workgroup_id_y 0
		.amdhsa_system_sgpr_workgroup_id_z 0
		.amdhsa_system_sgpr_workgroup_info 0
		.amdhsa_system_vgpr_workitem_id 0
		.amdhsa_next_free_vgpr 20
		.amdhsa_next_free_sgpr 10
		.amdhsa_accum_offset 20
		.amdhsa_reserve_vcc 1
		.amdhsa_reserve_flat_scratch 0
		.amdhsa_float_round_mode_32 0
		.amdhsa_float_round_mode_16_64 0
		.amdhsa_float_denorm_mode_32 3
		.amdhsa_float_denorm_mode_16_64 3
		.amdhsa_dx10_clamp 1
		.amdhsa_ieee_mode 1
		.amdhsa_fp16_overflow 0
		.amdhsa_tg_split 0
		.amdhsa_exception_fp_ieee_invalid_op 0
		.amdhsa_exception_fp_denorm_src 0
		.amdhsa_exception_fp_ieee_div_zero 0
		.amdhsa_exception_fp_ieee_overflow 0
		.amdhsa_exception_fp_ieee_underflow 0
		.amdhsa_exception_fp_ieee_inexact 0
		.amdhsa_exception_int_div_zero 0
	.end_amdhsa_kernel
	.section	.text._Z13reduce_kernelILj377ELN6hipcub20BlockReduceAlgorithmE0ElEvPT1_S3_,"axG",@progbits,_Z13reduce_kernelILj377ELN6hipcub20BlockReduceAlgorithmE0ElEvPT1_S3_,comdat
.Lfunc_end24:
	.size	_Z13reduce_kernelILj377ELN6hipcub20BlockReduceAlgorithmE0ElEvPT1_S3_, .Lfunc_end24-_Z13reduce_kernelILj377ELN6hipcub20BlockReduceAlgorithmE0ElEvPT1_S3_
                                        ; -- End function
	.section	.AMDGPU.csdata,"",@progbits
; Kernel info:
; codeLenInByte = 996
; NumSgprs: 14
; NumVgprs: 20
; NumAgprs: 0
; TotalNumVgprs: 20
; ScratchSize: 0
; MemoryBound: 0
; FloatMode: 240
; IeeeMode: 1
; LDSByteSize: 48 bytes/workgroup (compile time only)
; SGPRBlocks: 1
; VGPRBlocks: 2
; NumSGPRsForWavesPerEU: 14
; NumVGPRsForWavesPerEU: 20
; AccumOffset: 20
; Occupancy: 8
; WaveLimiterHint : 0
; COMPUTE_PGM_RSRC2:SCRATCH_EN: 0
; COMPUTE_PGM_RSRC2:USER_SGPR: 6
; COMPUTE_PGM_RSRC2:TRAP_HANDLER: 0
; COMPUTE_PGM_RSRC2:TGID_X_EN: 1
; COMPUTE_PGM_RSRC2:TGID_Y_EN: 0
; COMPUTE_PGM_RSRC2:TGID_Z_EN: 0
; COMPUTE_PGM_RSRC2:TIDIG_COMP_CNT: 0
; COMPUTE_PGM_RSRC3_GFX90A:ACCUM_OFFSET: 4
; COMPUTE_PGM_RSRC3_GFX90A:TG_SPLIT: 0
	.section	.text._Z13reduce_kernelILj256ELN6hipcub20BlockReduceAlgorithmE0ElEvPT1_S3_,"axG",@progbits,_Z13reduce_kernelILj256ELN6hipcub20BlockReduceAlgorithmE0ElEvPT1_S3_,comdat
	.protected	_Z13reduce_kernelILj256ELN6hipcub20BlockReduceAlgorithmE0ElEvPT1_S3_ ; -- Begin function _Z13reduce_kernelILj256ELN6hipcub20BlockReduceAlgorithmE0ElEvPT1_S3_
	.globl	_Z13reduce_kernelILj256ELN6hipcub20BlockReduceAlgorithmE0ElEvPT1_S3_
	.p2align	8
	.type	_Z13reduce_kernelILj256ELN6hipcub20BlockReduceAlgorithmE0ElEvPT1_S3_,@function
_Z13reduce_kernelILj256ELN6hipcub20BlockReduceAlgorithmE0ElEvPT1_S3_: ; @_Z13reduce_kernelILj256ELN6hipcub20BlockReduceAlgorithmE0ElEvPT1_S3_
; %bb.0:
	s_load_dwordx4 s[0:3], s[4:5], 0x0
	v_lshl_or_b32 v2, s6, 8, v0
	v_mov_b32_e32 v3, 0
	v_lshlrev_b64 v[2:3], 3, v[2:3]
	v_bfrev_b32_e32 v4, 0.5
	s_waitcnt lgkmcnt(0)
	v_mov_b32_e32 v1, s1
	v_add_co_u32_e32 v2, vcc, s0, v2
	v_addc_co_u32_e32 v3, vcc, v1, v3, vcc
	global_load_dwordx2 v[2:3], v[2:3], off
	v_mbcnt_lo_u32_b32 v1, -1, 0
	v_mbcnt_hi_u32_b32 v1, -1, v1
	v_lshl_or_b32 v4, v1, 2, v4
	s_waitcnt vmcnt(0)
	v_mov_b32_dpp v5, v2 quad_perm:[1,0,3,2] row_mask:0xf bank_mask:0xf
	v_add_co_u32_e32 v2, vcc, v2, v5
	v_mov_b32_dpp v6, v3 quad_perm:[1,0,3,2] row_mask:0xf bank_mask:0xf
	v_addc_co_u32_e32 v3, vcc, 0, v3, vcc
	v_add_co_u32_e32 v5, vcc, 0, v2
	v_addc_co_u32_e32 v3, vcc, v6, v3, vcc
	v_mov_b32_dpp v2, v2 quad_perm:[2,3,0,1] row_mask:0xf bank_mask:0xf
	v_add_co_u32_e32 v2, vcc, v5, v2
	v_mov_b32_dpp v6, v3 quad_perm:[2,3,0,1] row_mask:0xf bank_mask:0xf
	v_addc_co_u32_e32 v3, vcc, 0, v3, vcc
	v_add_co_u32_e32 v5, vcc, 0, v2
	v_addc_co_u32_e32 v3, vcc, v3, v6, vcc
	v_mov_b32_dpp v2, v2 row_ror:4 row_mask:0xf bank_mask:0xf
	v_add_co_u32_e32 v2, vcc, v5, v2
	v_mov_b32_dpp v6, v3 row_ror:4 row_mask:0xf bank_mask:0xf
	v_addc_co_u32_e32 v3, vcc, 0, v3, vcc
	v_add_co_u32_e32 v5, vcc, 0, v2
	v_addc_co_u32_e32 v3, vcc, v3, v6, vcc
	v_mov_b32_dpp v2, v2 row_ror:8 row_mask:0xf bank_mask:0xf
	v_add_co_u32_e32 v2, vcc, v5, v2
	v_mov_b32_dpp v6, v3 row_ror:8 row_mask:0xf bank_mask:0xf
	v_addc_co_u32_e32 v3, vcc, 0, v3, vcc
	v_add_co_u32_e32 v5, vcc, 0, v2
	v_addc_co_u32_e32 v3, vcc, v3, v6, vcc
	v_mov_b32_dpp v2, v2 row_bcast:15 row_mask:0xf bank_mask:0xf
	v_add_co_u32_e32 v2, vcc, v5, v2
	v_mov_b32_dpp v6, v3 row_bcast:15 row_mask:0xf bank_mask:0xf
	v_addc_co_u32_e32 v3, vcc, 0, v3, vcc
	v_add_co_u32_e32 v5, vcc, 0, v2
	v_addc_co_u32_e32 v3, vcc, v3, v6, vcc
	v_mov_b32_dpp v2, v2 row_bcast:31 row_mask:0xf bank_mask:0xf
	v_add_co_u32_e32 v2, vcc, v5, v2
	v_mov_b32_dpp v6, v3 row_bcast:31 row_mask:0xf bank_mask:0xf
	v_addc_co_u32_e32 v3, vcc, 0, v3, vcc
	v_add_u32_e32 v3, v6, v3
	ds_bpermute_b32 v2, v4, v2
	ds_bpermute_b32 v3, v4, v3
	v_cmp_eq_u32_e32 vcc, 0, v1
	s_and_saveexec_b64 s[0:1], vcc
	s_cbranch_execz .LBB25_2
; %bb.1:
	v_lshrrev_b32_e32 v4, 3, v0
	v_and_b32_e32 v4, 24, v4
	s_waitcnt lgkmcnt(0)
	ds_write_b64 v4, v[2:3]
.LBB25_2:
	s_or_b64 exec, exec, s[0:1]
	v_cmp_gt_u32_e32 vcc, 64, v0
	s_waitcnt lgkmcnt(0)
	s_barrier
	s_and_saveexec_b64 s[0:1], vcc
	s_cbranch_execz .LBB25_4
; %bb.3:
	v_and_b32_e32 v4, 3, v1
	v_lshlrev_b32_e32 v2, 3, v4
	ds_read_b64 v[2:3], v2
	v_cmp_ne_u32_e32 vcc, 3, v4
	v_addc_co_u32_e32 v5, vcc, 0, v1, vcc
	v_lshlrev_b32_e32 v5, 2, v5
	s_waitcnt lgkmcnt(0)
	ds_bpermute_b32 v6, v5, v2
	ds_bpermute_b32 v5, v5, v3
	s_waitcnt lgkmcnt(1)
	v_add_co_u32_e32 v2, vcc, v2, v6
	v_addc_co_u32_e32 v3, vcc, 0, v3, vcc
	v_cmp_gt_u32_e32 vcc, 2, v4
	v_cndmask_b32_e64 v4, 0, 1, vcc
	v_lshlrev_b32_e32 v4, 1, v4
	v_add_lshl_u32 v1, v4, v1, 2
	ds_bpermute_b32 v4, v1, v2
	v_add_co_u32_e32 v2, vcc, 0, v2
	s_waitcnt lgkmcnt(1)
	v_addc_co_u32_e32 v3, vcc, v5, v3, vcc
	ds_bpermute_b32 v1, v1, v3
	s_waitcnt lgkmcnt(1)
	v_add_co_u32_e32 v2, vcc, v2, v4
	v_addc_co_u32_e32 v3, vcc, 0, v3, vcc
	v_add_co_u32_e32 v2, vcc, 0, v2
	s_waitcnt lgkmcnt(0)
	v_addc_co_u32_e32 v3, vcc, v3, v1, vcc
.LBB25_4:
	s_or_b64 exec, exec, s[0:1]
	s_mov_b32 s7, 0
	v_cmp_eq_u32_e32 vcc, 0, v0
	s_and_saveexec_b64 s[0:1], vcc
	s_cbranch_execz .LBB25_6
; %bb.5:
	s_lshl_b64 s[0:1], s[6:7], 3
	s_add_u32 s0, s2, s0
	s_addc_u32 s1, s3, s1
	v_mov_b32_e32 v0, 0
	global_store_dwordx2 v0, v[2:3], s[0:1]
.LBB25_6:
	s_endpgm
	.section	.rodata,"a",@progbits
	.p2align	6, 0x0
	.amdhsa_kernel _Z13reduce_kernelILj256ELN6hipcub20BlockReduceAlgorithmE0ElEvPT1_S3_
		.amdhsa_group_segment_fixed_size 32
		.amdhsa_private_segment_fixed_size 0
		.amdhsa_kernarg_size 16
		.amdhsa_user_sgpr_count 6
		.amdhsa_user_sgpr_private_segment_buffer 1
		.amdhsa_user_sgpr_dispatch_ptr 0
		.amdhsa_user_sgpr_queue_ptr 0
		.amdhsa_user_sgpr_kernarg_segment_ptr 1
		.amdhsa_user_sgpr_dispatch_id 0
		.amdhsa_user_sgpr_flat_scratch_init 0
		.amdhsa_user_sgpr_kernarg_preload_length 0
		.amdhsa_user_sgpr_kernarg_preload_offset 0
		.amdhsa_user_sgpr_private_segment_size 0
		.amdhsa_uses_dynamic_stack 0
		.amdhsa_system_sgpr_private_segment_wavefront_offset 0
		.amdhsa_system_sgpr_workgroup_id_x 1
		.amdhsa_system_sgpr_workgroup_id_y 0
		.amdhsa_system_sgpr_workgroup_id_z 0
		.amdhsa_system_sgpr_workgroup_info 0
		.amdhsa_system_vgpr_workitem_id 0
		.amdhsa_next_free_vgpr 7
		.amdhsa_next_free_sgpr 8
		.amdhsa_accum_offset 8
		.amdhsa_reserve_vcc 1
		.amdhsa_reserve_flat_scratch 0
		.amdhsa_float_round_mode_32 0
		.amdhsa_float_round_mode_16_64 0
		.amdhsa_float_denorm_mode_32 3
		.amdhsa_float_denorm_mode_16_64 3
		.amdhsa_dx10_clamp 1
		.amdhsa_ieee_mode 1
		.amdhsa_fp16_overflow 0
		.amdhsa_tg_split 0
		.amdhsa_exception_fp_ieee_invalid_op 0
		.amdhsa_exception_fp_denorm_src 0
		.amdhsa_exception_fp_ieee_div_zero 0
		.amdhsa_exception_fp_ieee_overflow 0
		.amdhsa_exception_fp_ieee_underflow 0
		.amdhsa_exception_fp_ieee_inexact 0
		.amdhsa_exception_int_div_zero 0
	.end_amdhsa_kernel
	.section	.text._Z13reduce_kernelILj256ELN6hipcub20BlockReduceAlgorithmE0ElEvPT1_S3_,"axG",@progbits,_Z13reduce_kernelILj256ELN6hipcub20BlockReduceAlgorithmE0ElEvPT1_S3_,comdat
.Lfunc_end25:
	.size	_Z13reduce_kernelILj256ELN6hipcub20BlockReduceAlgorithmE0ElEvPT1_S3_, .Lfunc_end25-_Z13reduce_kernelILj256ELN6hipcub20BlockReduceAlgorithmE0ElEvPT1_S3_
                                        ; -- End function
	.section	.AMDGPU.csdata,"",@progbits
; Kernel info:
; codeLenInByte = 528
; NumSgprs: 12
; NumVgprs: 7
; NumAgprs: 0
; TotalNumVgprs: 7
; ScratchSize: 0
; MemoryBound: 0
; FloatMode: 240
; IeeeMode: 1
; LDSByteSize: 32 bytes/workgroup (compile time only)
; SGPRBlocks: 1
; VGPRBlocks: 0
; NumSGPRsForWavesPerEU: 12
; NumVGPRsForWavesPerEU: 7
; AccumOffset: 8
; Occupancy: 8
; WaveLimiterHint : 0
; COMPUTE_PGM_RSRC2:SCRATCH_EN: 0
; COMPUTE_PGM_RSRC2:USER_SGPR: 6
; COMPUTE_PGM_RSRC2:TRAP_HANDLER: 0
; COMPUTE_PGM_RSRC2:TGID_X_EN: 1
; COMPUTE_PGM_RSRC2:TGID_Y_EN: 0
; COMPUTE_PGM_RSRC2:TGID_Z_EN: 0
; COMPUTE_PGM_RSRC2:TIDIG_COMP_CNT: 0
; COMPUTE_PGM_RSRC3_GFX90A:ACCUM_OFFSET: 1
; COMPUTE_PGM_RSRC3_GFX90A:TG_SPLIT: 0
	.section	.text._Z13reduce_kernelILj64ELN6hipcub20BlockReduceAlgorithmE0ElEvPT1_S3_,"axG",@progbits,_Z13reduce_kernelILj64ELN6hipcub20BlockReduceAlgorithmE0ElEvPT1_S3_,comdat
	.protected	_Z13reduce_kernelILj64ELN6hipcub20BlockReduceAlgorithmE0ElEvPT1_S3_ ; -- Begin function _Z13reduce_kernelILj64ELN6hipcub20BlockReduceAlgorithmE0ElEvPT1_S3_
	.globl	_Z13reduce_kernelILj64ELN6hipcub20BlockReduceAlgorithmE0ElEvPT1_S3_
	.p2align	8
	.type	_Z13reduce_kernelILj64ELN6hipcub20BlockReduceAlgorithmE0ElEvPT1_S3_,@function
_Z13reduce_kernelILj64ELN6hipcub20BlockReduceAlgorithmE0ElEvPT1_S3_: ; @_Z13reduce_kernelILj64ELN6hipcub20BlockReduceAlgorithmE0ElEvPT1_S3_
; %bb.0:
	s_load_dwordx4 s[0:3], s[4:5], 0x0
	v_lshl_or_b32 v2, s6, 6, v0
	v_mov_b32_e32 v3, 0
	v_lshlrev_b64 v[4:5], 3, v[2:3]
	v_bfrev_b32_e32 v2, 0.5
	s_waitcnt lgkmcnt(0)
	v_mov_b32_e32 v1, s1
	v_add_co_u32_e32 v4, vcc, s0, v4
	v_addc_co_u32_e32 v5, vcc, v1, v5, vcc
	global_load_dwordx2 v[4:5], v[4:5], off
	v_mbcnt_lo_u32_b32 v1, -1, 0
	v_mbcnt_hi_u32_b32 v1, -1, v1
	v_lshl_or_b32 v1, v1, 2, v2
	s_mov_b32 s7, 0
	s_waitcnt vmcnt(0)
	v_mov_b32_dpp v2, v4 quad_perm:[1,0,3,2] row_mask:0xf bank_mask:0xf
	v_add_co_u32_e32 v2, vcc, v4, v2
	v_addc_co_u32_e32 v4, vcc, 0, v5, vcc
	v_mov_b32_dpp v6, v5 quad_perm:[1,0,3,2] row_mask:0xf bank_mask:0xf
	v_add_co_u32_e32 v5, vcc, 0, v2
	v_addc_co_u32_e32 v4, vcc, v6, v4, vcc
	v_mov_b32_dpp v2, v2 quad_perm:[2,3,0,1] row_mask:0xf bank_mask:0xf
	v_add_co_u32_e32 v2, vcc, v5, v2
	v_mov_b32_dpp v6, v4 quad_perm:[2,3,0,1] row_mask:0xf bank_mask:0xf
	v_addc_co_u32_e32 v4, vcc, 0, v4, vcc
	v_add_co_u32_e32 v5, vcc, 0, v2
	v_addc_co_u32_e32 v4, vcc, v4, v6, vcc
	v_mov_b32_dpp v2, v2 row_ror:4 row_mask:0xf bank_mask:0xf
	v_add_co_u32_e32 v2, vcc, v5, v2
	v_mov_b32_dpp v6, v4 row_ror:4 row_mask:0xf bank_mask:0xf
	v_addc_co_u32_e32 v4, vcc, 0, v4, vcc
	v_add_co_u32_e32 v5, vcc, 0, v2
	v_addc_co_u32_e32 v4, vcc, v4, v6, vcc
	v_mov_b32_dpp v2, v2 row_ror:8 row_mask:0xf bank_mask:0xf
	v_add_co_u32_e32 v2, vcc, v5, v2
	v_mov_b32_dpp v6, v4 row_ror:8 row_mask:0xf bank_mask:0xf
	v_addc_co_u32_e32 v4, vcc, 0, v4, vcc
	v_add_co_u32_e32 v5, vcc, 0, v2
	v_addc_co_u32_e32 v4, vcc, v4, v6, vcc
	v_mov_b32_dpp v2, v2 row_bcast:15 row_mask:0xf bank_mask:0xf
	v_add_co_u32_e32 v2, vcc, v5, v2
	v_mov_b32_dpp v6, v4 row_bcast:15 row_mask:0xf bank_mask:0xf
	v_addc_co_u32_e32 v4, vcc, 0, v4, vcc
	v_add_co_u32_e32 v5, vcc, 0, v2
	v_addc_co_u32_e32 v4, vcc, v4, v6, vcc
	v_mov_b32_dpp v2, v2 row_bcast:31 row_mask:0xf bank_mask:0xf
	v_add_co_u32_e32 v2, vcc, v5, v2
	v_mov_b32_dpp v6, v4 row_bcast:31 row_mask:0xf bank_mask:0xf
	v_addc_co_u32_e32 v4, vcc, 0, v4, vcc
	v_add_u32_e32 v5, v6, v4
	ds_bpermute_b32 v4, v1, v2
	ds_bpermute_b32 v5, v1, v5
	v_cmp_eq_u32_e32 vcc, 0, v0
	s_and_saveexec_b64 s[0:1], vcc
	s_cbranch_execz .LBB26_2
; %bb.1:
	s_lshl_b64 s[0:1], s[6:7], 3
	s_add_u32 s0, s2, s0
	s_addc_u32 s1, s3, s1
	s_waitcnt lgkmcnt(0)
	global_store_dwordx2 v3, v[4:5], s[0:1]
.LBB26_2:
	s_endpgm
	.section	.rodata,"a",@progbits
	.p2align	6, 0x0
	.amdhsa_kernel _Z13reduce_kernelILj64ELN6hipcub20BlockReduceAlgorithmE0ElEvPT1_S3_
		.amdhsa_group_segment_fixed_size 0
		.amdhsa_private_segment_fixed_size 0
		.amdhsa_kernarg_size 16
		.amdhsa_user_sgpr_count 6
		.amdhsa_user_sgpr_private_segment_buffer 1
		.amdhsa_user_sgpr_dispatch_ptr 0
		.amdhsa_user_sgpr_queue_ptr 0
		.amdhsa_user_sgpr_kernarg_segment_ptr 1
		.amdhsa_user_sgpr_dispatch_id 0
		.amdhsa_user_sgpr_flat_scratch_init 0
		.amdhsa_user_sgpr_kernarg_preload_length 0
		.amdhsa_user_sgpr_kernarg_preload_offset 0
		.amdhsa_user_sgpr_private_segment_size 0
		.amdhsa_uses_dynamic_stack 0
		.amdhsa_system_sgpr_private_segment_wavefront_offset 0
		.amdhsa_system_sgpr_workgroup_id_x 1
		.amdhsa_system_sgpr_workgroup_id_y 0
		.amdhsa_system_sgpr_workgroup_id_z 0
		.amdhsa_system_sgpr_workgroup_info 0
		.amdhsa_system_vgpr_workitem_id 0
		.amdhsa_next_free_vgpr 7
		.amdhsa_next_free_sgpr 8
		.amdhsa_accum_offset 8
		.amdhsa_reserve_vcc 1
		.amdhsa_reserve_flat_scratch 0
		.amdhsa_float_round_mode_32 0
		.amdhsa_float_round_mode_16_64 0
		.amdhsa_float_denorm_mode_32 3
		.amdhsa_float_denorm_mode_16_64 3
		.amdhsa_dx10_clamp 1
		.amdhsa_ieee_mode 1
		.amdhsa_fp16_overflow 0
		.amdhsa_tg_split 0
		.amdhsa_exception_fp_ieee_invalid_op 0
		.amdhsa_exception_fp_denorm_src 0
		.amdhsa_exception_fp_ieee_div_zero 0
		.amdhsa_exception_fp_ieee_overflow 0
		.amdhsa_exception_fp_ieee_underflow 0
		.amdhsa_exception_fp_ieee_inexact 0
		.amdhsa_exception_int_div_zero 0
	.end_amdhsa_kernel
	.section	.text._Z13reduce_kernelILj64ELN6hipcub20BlockReduceAlgorithmE0ElEvPT1_S3_,"axG",@progbits,_Z13reduce_kernelILj64ELN6hipcub20BlockReduceAlgorithmE0ElEvPT1_S3_,comdat
.Lfunc_end26:
	.size	_Z13reduce_kernelILj64ELN6hipcub20BlockReduceAlgorithmE0ElEvPT1_S3_, .Lfunc_end26-_Z13reduce_kernelILj64ELN6hipcub20BlockReduceAlgorithmE0ElEvPT1_S3_
                                        ; -- End function
	.section	.AMDGPU.csdata,"",@progbits
; Kernel info:
; codeLenInByte = 332
; NumSgprs: 12
; NumVgprs: 7
; NumAgprs: 0
; TotalNumVgprs: 7
; ScratchSize: 0
; MemoryBound: 0
; FloatMode: 240
; IeeeMode: 1
; LDSByteSize: 0 bytes/workgroup (compile time only)
; SGPRBlocks: 1
; VGPRBlocks: 0
; NumSGPRsForWavesPerEU: 12
; NumVGPRsForWavesPerEU: 7
; AccumOffset: 8
; Occupancy: 8
; WaveLimiterHint : 0
; COMPUTE_PGM_RSRC2:SCRATCH_EN: 0
; COMPUTE_PGM_RSRC2:USER_SGPR: 6
; COMPUTE_PGM_RSRC2:TRAP_HANDLER: 0
; COMPUTE_PGM_RSRC2:TGID_X_EN: 1
; COMPUTE_PGM_RSRC2:TGID_Y_EN: 0
; COMPUTE_PGM_RSRC2:TGID_Z_EN: 0
; COMPUTE_PGM_RSRC2:TIDIG_COMP_CNT: 0
; COMPUTE_PGM_RSRC3_GFX90A:ACCUM_OFFSET: 1
; COMPUTE_PGM_RSRC3_GFX90A:TG_SPLIT: 0
	.section	.text._Z13reduce_kernelILj377ELN6hipcub20BlockReduceAlgorithmE0EjEvPT1_S3_,"axG",@progbits,_Z13reduce_kernelILj377ELN6hipcub20BlockReduceAlgorithmE0EjEvPT1_S3_,comdat
	.protected	_Z13reduce_kernelILj377ELN6hipcub20BlockReduceAlgorithmE0EjEvPT1_S3_ ; -- Begin function _Z13reduce_kernelILj377ELN6hipcub20BlockReduceAlgorithmE0EjEvPT1_S3_
	.globl	_Z13reduce_kernelILj377ELN6hipcub20BlockReduceAlgorithmE0EjEvPT1_S3_
	.p2align	8
	.type	_Z13reduce_kernelILj377ELN6hipcub20BlockReduceAlgorithmE0EjEvPT1_S3_,@function
_Z13reduce_kernelILj377ELN6hipcub20BlockReduceAlgorithmE0EjEvPT1_S3_: ; @_Z13reduce_kernelILj377ELN6hipcub20BlockReduceAlgorithmE0EjEvPT1_S3_
; %bb.0:
	s_load_dwordx4 s[0:3], s[4:5], 0x0
	s_mul_i32 s4, s6, 0x179
	v_add_u32_e32 v2, s4, v0
	v_mov_b32_e32 v3, 0
	v_lshlrev_b64 v[2:3], 2, v[2:3]
	s_waitcnt lgkmcnt(0)
	v_mov_b32_e32 v1, s1
	v_add_co_u32_e32 v2, vcc, s0, v2
	v_addc_co_u32_e32 v3, vcc, v1, v3, vcc
	global_load_dword v2, v[2:3], off
	v_mbcnt_lo_u32_b32 v1, -1, 0
	s_movk_i32 s0, 0x180
	v_mbcnt_hi_u32_b32 v1, -1, v1
	v_and_b32_e32 v3, 0x1c0, v0
	v_sub_u32_e32 v3, 0x179, v3
	v_and_b32_e32 v4, 63, v1
	v_cmp_gt_u32_e32 vcc, s0, v0
	v_cndmask_b32_e32 v3, 0, v3, vcc
	v_cmp_ne_u32_e32 vcc, 63, v4
	v_addc_co_u32_e32 v10, vcc, 0, v1, vcc
	v_lshlrev_b32_e32 v10, 2, v10
	v_add_u32_e32 v5, 1, v1
	v_cmp_gt_u32_e32 vcc, 62, v4
	v_cndmask_b32_e64 v11, 0, 1, vcc
	v_cmp_lt_u32_e32 vcc, v5, v3
	v_lshlrev_b32_e32 v11, 1, v11
	v_add_lshl_u32 v11, v11, v1, 2
	v_add_u32_e32 v6, 2, v1
	v_add_u32_e32 v7, 4, v1
	;; [unrolled: 1-line block ×4, first 2 shown]
	s_waitcnt vmcnt(0)
	ds_bpermute_b32 v10, v10, v2
	s_waitcnt lgkmcnt(0)
	v_cndmask_b32_e32 v5, 0, v10, vcc
	v_add_u32_e32 v2, v5, v2
	ds_bpermute_b32 v5, v11, v2
	v_cmp_gt_u32_e32 vcc, 60, v4
	v_cndmask_b32_e64 v10, 0, 1, vcc
	v_cmp_lt_u32_e32 vcc, v6, v3
	v_lshlrev_b32_e32 v10, 2, v10
	s_waitcnt lgkmcnt(0)
	v_cndmask_b32_e32 v5, 0, v5, vcc
	v_add_lshl_u32 v10, v10, v1, 2
	v_add_u32_e32 v2, v2, v5
	ds_bpermute_b32 v5, v10, v2
	v_cmp_gt_u32_e32 vcc, 56, v4
	v_cndmask_b32_e64 v6, 0, 1, vcc
	v_cmp_lt_u32_e32 vcc, v7, v3
	v_lshlrev_b32_e32 v6, 3, v6
	s_waitcnt lgkmcnt(0)
	v_cndmask_b32_e32 v5, 0, v5, vcc
	v_add_lshl_u32 v6, v6, v1, 2
	;; [unrolled: 9-line block ×4, first 2 shown]
	v_add_u32_e32 v2, v2, v5
	ds_bpermute_b32 v4, v4, v2
	v_add_u32_e32 v5, 32, v1
	v_cmp_lt_u32_e32 vcc, v5, v3
	s_waitcnt lgkmcnt(0)
	v_cndmask_b32_e32 v3, 0, v4, vcc
	v_add_u32_e32 v2, v2, v3
	v_cmp_eq_u32_e32 vcc, 0, v1
	s_and_saveexec_b64 s[0:1], vcc
	s_cbranch_execz .LBB27_2
; %bb.1:
	v_lshrrev_b32_e32 v3, 4, v0
	v_and_b32_e32 v3, 28, v3
	ds_write_b32 v3, v2
.LBB27_2:
	s_or_b64 exec, exec, s[0:1]
	v_cmp_gt_u32_e32 vcc, 64, v0
	s_waitcnt lgkmcnt(0)
	s_barrier
	s_and_saveexec_b64 s[0:1], vcc
	s_cbranch_execz .LBB27_4
; %bb.3:
	s_mov_b32 s4, 0x2aaaaaab
	v_mul_hi_u32 v2, v1, s4
	v_mul_u32_u24_e32 v2, 6, v2
	v_sub_u32_e32 v2, v1, v2
	v_lshlrev_b32_e32 v2, 2, v2
	ds_read_b32 v2, v2
	v_and_b32_e32 v3, 7, v1
	v_cmp_ne_u32_e32 vcc, 7, v3
	v_addc_co_u32_e32 v4, vcc, 0, v1, vcc
	v_lshlrev_b32_e32 v4, 2, v4
	s_waitcnt lgkmcnt(0)
	ds_bpermute_b32 v4, v4, v2
	v_cmp_gt_u32_e32 vcc, 6, v3
	v_cndmask_b32_e64 v5, 0, 1, vcc
	v_cmp_gt_u32_e32 vcc, 5, v3
	s_waitcnt lgkmcnt(0)
	v_cndmask_b32_e32 v4, 0, v4, vcc
	v_add_u32_e32 v2, v4, v2
	v_lshlrev_b32_e32 v4, 1, v5
	v_add_lshl_u32 v4, v4, v1, 2
	ds_bpermute_b32 v4, v4, v2
	v_cmp_gt_u32_e32 vcc, 4, v3
	v_cndmask_b32_e64 v5, 0, 1, vcc
	s_waitcnt lgkmcnt(0)
	v_cndmask_b32_e32 v4, 0, v4, vcc
	v_add_u32_e32 v2, v2, v4
	v_lshlrev_b32_e32 v4, 2, v5
	v_add_lshl_u32 v1, v4, v1, 2
	ds_bpermute_b32 v1, v1, v2
	v_cmp_gt_u32_e32 vcc, 2, v3
	s_waitcnt lgkmcnt(0)
	v_cndmask_b32_e32 v1, 0, v1, vcc
	v_add_u32_e32 v2, v2, v1
.LBB27_4:
	s_or_b64 exec, exec, s[0:1]
	s_mov_b32 s7, 0
	v_cmp_eq_u32_e32 vcc, 0, v0
	s_and_saveexec_b64 s[0:1], vcc
	s_cbranch_execz .LBB27_6
; %bb.5:
	s_lshl_b64 s[0:1], s[6:7], 2
	s_add_u32 s0, s2, s0
	s_addc_u32 s1, s3, s1
	v_mov_b32_e32 v0, 0
	global_store_dword v0, v2, s[0:1]
.LBB27_6:
	s_endpgm
	.section	.rodata,"a",@progbits
	.p2align	6, 0x0
	.amdhsa_kernel _Z13reduce_kernelILj377ELN6hipcub20BlockReduceAlgorithmE0EjEvPT1_S3_
		.amdhsa_group_segment_fixed_size 24
		.amdhsa_private_segment_fixed_size 0
		.amdhsa_kernarg_size 16
		.amdhsa_user_sgpr_count 6
		.amdhsa_user_sgpr_private_segment_buffer 1
		.amdhsa_user_sgpr_dispatch_ptr 0
		.amdhsa_user_sgpr_queue_ptr 0
		.amdhsa_user_sgpr_kernarg_segment_ptr 1
		.amdhsa_user_sgpr_dispatch_id 0
		.amdhsa_user_sgpr_flat_scratch_init 0
		.amdhsa_user_sgpr_kernarg_preload_length 0
		.amdhsa_user_sgpr_kernarg_preload_offset 0
		.amdhsa_user_sgpr_private_segment_size 0
		.amdhsa_uses_dynamic_stack 0
		.amdhsa_system_sgpr_private_segment_wavefront_offset 0
		.amdhsa_system_sgpr_workgroup_id_x 1
		.amdhsa_system_sgpr_workgroup_id_y 0
		.amdhsa_system_sgpr_workgroup_id_z 0
		.amdhsa_system_sgpr_workgroup_info 0
		.amdhsa_system_vgpr_workitem_id 0
		.amdhsa_next_free_vgpr 12
		.amdhsa_next_free_sgpr 8
		.amdhsa_accum_offset 12
		.amdhsa_reserve_vcc 1
		.amdhsa_reserve_flat_scratch 0
		.amdhsa_float_round_mode_32 0
		.amdhsa_float_round_mode_16_64 0
		.amdhsa_float_denorm_mode_32 3
		.amdhsa_float_denorm_mode_16_64 3
		.amdhsa_dx10_clamp 1
		.amdhsa_ieee_mode 1
		.amdhsa_fp16_overflow 0
		.amdhsa_tg_split 0
		.amdhsa_exception_fp_ieee_invalid_op 0
		.amdhsa_exception_fp_denorm_src 0
		.amdhsa_exception_fp_ieee_div_zero 0
		.amdhsa_exception_fp_ieee_overflow 0
		.amdhsa_exception_fp_ieee_underflow 0
		.amdhsa_exception_fp_ieee_inexact 0
		.amdhsa_exception_int_div_zero 0
	.end_amdhsa_kernel
	.section	.text._Z13reduce_kernelILj377ELN6hipcub20BlockReduceAlgorithmE0EjEvPT1_S3_,"axG",@progbits,_Z13reduce_kernelILj377ELN6hipcub20BlockReduceAlgorithmE0EjEvPT1_S3_,comdat
.Lfunc_end27:
	.size	_Z13reduce_kernelILj377ELN6hipcub20BlockReduceAlgorithmE0EjEvPT1_S3_, .Lfunc_end27-_Z13reduce_kernelILj377ELN6hipcub20BlockReduceAlgorithmE0EjEvPT1_S3_
                                        ; -- End function
	.section	.AMDGPU.csdata,"",@progbits
; Kernel info:
; codeLenInByte = 680
; NumSgprs: 12
; NumVgprs: 12
; NumAgprs: 0
; TotalNumVgprs: 12
; ScratchSize: 0
; MemoryBound: 0
; FloatMode: 240
; IeeeMode: 1
; LDSByteSize: 24 bytes/workgroup (compile time only)
; SGPRBlocks: 1
; VGPRBlocks: 1
; NumSGPRsForWavesPerEU: 12
; NumVGPRsForWavesPerEU: 12
; AccumOffset: 12
; Occupancy: 8
; WaveLimiterHint : 0
; COMPUTE_PGM_RSRC2:SCRATCH_EN: 0
; COMPUTE_PGM_RSRC2:USER_SGPR: 6
; COMPUTE_PGM_RSRC2:TRAP_HANDLER: 0
; COMPUTE_PGM_RSRC2:TGID_X_EN: 1
; COMPUTE_PGM_RSRC2:TGID_Y_EN: 0
; COMPUTE_PGM_RSRC2:TGID_Z_EN: 0
; COMPUTE_PGM_RSRC2:TIDIG_COMP_CNT: 0
; COMPUTE_PGM_RSRC3_GFX90A:ACCUM_OFFSET: 2
; COMPUTE_PGM_RSRC3_GFX90A:TG_SPLIT: 0
	.section	.text._Z13reduce_kernelILj256ELN6hipcub20BlockReduceAlgorithmE0EjEvPT1_S3_,"axG",@progbits,_Z13reduce_kernelILj256ELN6hipcub20BlockReduceAlgorithmE0EjEvPT1_S3_,comdat
	.protected	_Z13reduce_kernelILj256ELN6hipcub20BlockReduceAlgorithmE0EjEvPT1_S3_ ; -- Begin function _Z13reduce_kernelILj256ELN6hipcub20BlockReduceAlgorithmE0EjEvPT1_S3_
	.globl	_Z13reduce_kernelILj256ELN6hipcub20BlockReduceAlgorithmE0EjEvPT1_S3_
	.p2align	8
	.type	_Z13reduce_kernelILj256ELN6hipcub20BlockReduceAlgorithmE0EjEvPT1_S3_,@function
_Z13reduce_kernelILj256ELN6hipcub20BlockReduceAlgorithmE0EjEvPT1_S3_: ; @_Z13reduce_kernelILj256ELN6hipcub20BlockReduceAlgorithmE0EjEvPT1_S3_
; %bb.0:
	s_load_dwordx4 s[0:3], s[4:5], 0x0
	v_lshl_or_b32 v2, s6, 8, v0
	v_mov_b32_e32 v3, 0
	v_lshlrev_b64 v[2:3], 2, v[2:3]
	s_waitcnt lgkmcnt(0)
	v_mov_b32_e32 v1, s1
	v_add_co_u32_e32 v2, vcc, s0, v2
	v_addc_co_u32_e32 v3, vcc, v1, v3, vcc
	global_load_dword v2, v[2:3], off
	v_mbcnt_lo_u32_b32 v1, -1, 0
	v_bfrev_b32_e32 v3, 0.5
	v_mbcnt_hi_u32_b32 v1, -1, v1
	v_lshl_or_b32 v3, v1, 2, v3
	v_cmp_eq_u32_e32 vcc, 0, v1
	s_waitcnt vmcnt(0)
	v_mov_b32_dpp v4, v2 quad_perm:[1,0,3,2] row_mask:0xf bank_mask:0xf
	v_add_u32_e32 v2, v4, v2
	s_nop 1
	v_mov_b32_dpp v4, v2 quad_perm:[2,3,0,1] row_mask:0xf bank_mask:0xf
	v_add_u32_e32 v2, v2, v4
	s_nop 1
	v_mov_b32_dpp v4, v2 row_ror:4 row_mask:0xf bank_mask:0xf
	v_add_u32_e32 v2, v2, v4
	s_nop 1
	v_mov_b32_dpp v4, v2 row_ror:8 row_mask:0xf bank_mask:0xf
	v_add_u32_e32 v2, v2, v4
	s_nop 1
	v_mov_b32_dpp v4, v2 row_bcast:15 row_mask:0xf bank_mask:0xf
	v_add_u32_e32 v2, v2, v4
	s_nop 1
	v_mov_b32_dpp v4, v2 row_bcast:31 row_mask:0xf bank_mask:0xf
	v_add_u32_e32 v2, v2, v4
	ds_bpermute_b32 v2, v3, v2
	s_and_saveexec_b64 s[0:1], vcc
	s_cbranch_execz .LBB28_2
; %bb.1:
	v_lshrrev_b32_e32 v3, 4, v0
	v_and_b32_e32 v3, 12, v3
	s_waitcnt lgkmcnt(0)
	ds_write_b32 v3, v2
.LBB28_2:
	s_or_b64 exec, exec, s[0:1]
	v_cmp_gt_u32_e32 vcc, 64, v0
	s_waitcnt lgkmcnt(0)
	s_barrier
	s_and_saveexec_b64 s[0:1], vcc
	s_cbranch_execz .LBB28_4
; %bb.3:
	v_and_b32_e32 v2, 3, v1
	v_lshlrev_b32_e32 v3, 2, v2
	ds_read_b32 v3, v3
	v_cmp_ne_u32_e32 vcc, 3, v2
	v_addc_co_u32_e32 v4, vcc, 0, v1, vcc
	v_lshlrev_b32_e32 v4, 2, v4
	s_waitcnt lgkmcnt(0)
	ds_bpermute_b32 v4, v4, v3
	v_cmp_gt_u32_e32 vcc, 2, v2
	v_cndmask_b32_e64 v2, 0, 1, vcc
	v_lshlrev_b32_e32 v2, 1, v2
	v_add_lshl_u32 v1, v2, v1, 2
	s_waitcnt lgkmcnt(0)
	v_add_u32_e32 v3, v4, v3
	ds_bpermute_b32 v1, v1, v3
	s_waitcnt lgkmcnt(0)
	v_add_u32_e32 v2, v1, v3
.LBB28_4:
	s_or_b64 exec, exec, s[0:1]
	s_mov_b32 s7, 0
	v_cmp_eq_u32_e32 vcc, 0, v0
	s_and_saveexec_b64 s[0:1], vcc
	s_cbranch_execz .LBB28_6
; %bb.5:
	s_lshl_b64 s[0:1], s[6:7], 2
	s_add_u32 s0, s2, s0
	s_addc_u32 s1, s3, s1
	v_mov_b32_e32 v0, 0
	global_store_dword v0, v2, s[0:1]
.LBB28_6:
	s_endpgm
	.section	.rodata,"a",@progbits
	.p2align	6, 0x0
	.amdhsa_kernel _Z13reduce_kernelILj256ELN6hipcub20BlockReduceAlgorithmE0EjEvPT1_S3_
		.amdhsa_group_segment_fixed_size 16
		.amdhsa_private_segment_fixed_size 0
		.amdhsa_kernarg_size 16
		.amdhsa_user_sgpr_count 6
		.amdhsa_user_sgpr_private_segment_buffer 1
		.amdhsa_user_sgpr_dispatch_ptr 0
		.amdhsa_user_sgpr_queue_ptr 0
		.amdhsa_user_sgpr_kernarg_segment_ptr 1
		.amdhsa_user_sgpr_dispatch_id 0
		.amdhsa_user_sgpr_flat_scratch_init 0
		.amdhsa_user_sgpr_kernarg_preload_length 0
		.amdhsa_user_sgpr_kernarg_preload_offset 0
		.amdhsa_user_sgpr_private_segment_size 0
		.amdhsa_uses_dynamic_stack 0
		.amdhsa_system_sgpr_private_segment_wavefront_offset 0
		.amdhsa_system_sgpr_workgroup_id_x 1
		.amdhsa_system_sgpr_workgroup_id_y 0
		.amdhsa_system_sgpr_workgroup_id_z 0
		.amdhsa_system_sgpr_workgroup_info 0
		.amdhsa_system_vgpr_workitem_id 0
		.amdhsa_next_free_vgpr 5
		.amdhsa_next_free_sgpr 8
		.amdhsa_accum_offset 8
		.amdhsa_reserve_vcc 1
		.amdhsa_reserve_flat_scratch 0
		.amdhsa_float_round_mode_32 0
		.amdhsa_float_round_mode_16_64 0
		.amdhsa_float_denorm_mode_32 3
		.amdhsa_float_denorm_mode_16_64 3
		.amdhsa_dx10_clamp 1
		.amdhsa_ieee_mode 1
		.amdhsa_fp16_overflow 0
		.amdhsa_tg_split 0
		.amdhsa_exception_fp_ieee_invalid_op 0
		.amdhsa_exception_fp_denorm_src 0
		.amdhsa_exception_fp_ieee_div_zero 0
		.amdhsa_exception_fp_ieee_overflow 0
		.amdhsa_exception_fp_ieee_underflow 0
		.amdhsa_exception_fp_ieee_inexact 0
		.amdhsa_exception_int_div_zero 0
	.end_amdhsa_kernel
	.section	.text._Z13reduce_kernelILj256ELN6hipcub20BlockReduceAlgorithmE0EjEvPT1_S3_,"axG",@progbits,_Z13reduce_kernelILj256ELN6hipcub20BlockReduceAlgorithmE0EjEvPT1_S3_,comdat
.Lfunc_end28:
	.size	_Z13reduce_kernelILj256ELN6hipcub20BlockReduceAlgorithmE0EjEvPT1_S3_, .Lfunc_end28-_Z13reduce_kernelILj256ELN6hipcub20BlockReduceAlgorithmE0EjEvPT1_S3_
                                        ; -- End function
	.section	.AMDGPU.csdata,"",@progbits
; Kernel info:
; codeLenInByte = 376
; NumSgprs: 12
; NumVgprs: 5
; NumAgprs: 0
; TotalNumVgprs: 5
; ScratchSize: 0
; MemoryBound: 0
; FloatMode: 240
; IeeeMode: 1
; LDSByteSize: 16 bytes/workgroup (compile time only)
; SGPRBlocks: 1
; VGPRBlocks: 0
; NumSGPRsForWavesPerEU: 12
; NumVGPRsForWavesPerEU: 5
; AccumOffset: 8
; Occupancy: 8
; WaveLimiterHint : 0
; COMPUTE_PGM_RSRC2:SCRATCH_EN: 0
; COMPUTE_PGM_RSRC2:USER_SGPR: 6
; COMPUTE_PGM_RSRC2:TRAP_HANDLER: 0
; COMPUTE_PGM_RSRC2:TGID_X_EN: 1
; COMPUTE_PGM_RSRC2:TGID_Y_EN: 0
; COMPUTE_PGM_RSRC2:TGID_Z_EN: 0
; COMPUTE_PGM_RSRC2:TIDIG_COMP_CNT: 0
; COMPUTE_PGM_RSRC3_GFX90A:ACCUM_OFFSET: 1
; COMPUTE_PGM_RSRC3_GFX90A:TG_SPLIT: 0
	.section	.text._Z13reduce_kernelILj64ELN6hipcub20BlockReduceAlgorithmE0EjEvPT1_S3_,"axG",@progbits,_Z13reduce_kernelILj64ELN6hipcub20BlockReduceAlgorithmE0EjEvPT1_S3_,comdat
	.protected	_Z13reduce_kernelILj64ELN6hipcub20BlockReduceAlgorithmE0EjEvPT1_S3_ ; -- Begin function _Z13reduce_kernelILj64ELN6hipcub20BlockReduceAlgorithmE0EjEvPT1_S3_
	.globl	_Z13reduce_kernelILj64ELN6hipcub20BlockReduceAlgorithmE0EjEvPT1_S3_
	.p2align	8
	.type	_Z13reduce_kernelILj64ELN6hipcub20BlockReduceAlgorithmE0EjEvPT1_S3_,@function
_Z13reduce_kernelILj64ELN6hipcub20BlockReduceAlgorithmE0EjEvPT1_S3_: ; @_Z13reduce_kernelILj64ELN6hipcub20BlockReduceAlgorithmE0EjEvPT1_S3_
; %bb.0:
	s_load_dwordx4 s[0:3], s[4:5], 0x0
	v_lshl_or_b32 v2, s6, 6, v0
	v_mov_b32_e32 v3, 0
	v_lshlrev_b64 v[4:5], 2, v[2:3]
	v_mbcnt_lo_u32_b32 v2, -1, 0
	s_waitcnt lgkmcnt(0)
	v_mov_b32_e32 v1, s1
	v_add_co_u32_e32 v4, vcc, s0, v4
	v_addc_co_u32_e32 v5, vcc, v1, v5, vcc
	global_load_dword v1, v[4:5], off
	v_bfrev_b32_e32 v4, 0.5
	v_mbcnt_hi_u32_b32 v2, -1, v2
	v_lshl_or_b32 v2, v2, 2, v4
	s_mov_b32 s7, 0
	v_cmp_eq_u32_e32 vcc, 0, v0
	s_waitcnt vmcnt(0)
	v_mov_b32_dpp v5, v1 quad_perm:[1,0,3,2] row_mask:0xf bank_mask:0xf
	v_add_u32_e32 v1, v5, v1
	s_nop 1
	v_mov_b32_dpp v5, v1 quad_perm:[2,3,0,1] row_mask:0xf bank_mask:0xf
	v_add_u32_e32 v1, v1, v5
	s_nop 1
	v_mov_b32_dpp v5, v1 row_ror:4 row_mask:0xf bank_mask:0xf
	v_add_u32_e32 v1, v1, v5
	s_nop 1
	v_mov_b32_dpp v5, v1 row_ror:8 row_mask:0xf bank_mask:0xf
	v_add_u32_e32 v1, v1, v5
	s_nop 1
	v_mov_b32_dpp v5, v1 row_bcast:15 row_mask:0xf bank_mask:0xf
	v_add_u32_e32 v1, v1, v5
	s_nop 1
	v_mov_b32_dpp v5, v1 row_bcast:31 row_mask:0xf bank_mask:0xf
	v_add_u32_e32 v1, v1, v5
	ds_bpermute_b32 v1, v2, v1
	s_and_saveexec_b64 s[0:1], vcc
	s_cbranch_execz .LBB29_2
; %bb.1:
	s_lshl_b64 s[0:1], s[6:7], 2
	s_add_u32 s0, s2, s0
	s_addc_u32 s1, s3, s1
	s_waitcnt lgkmcnt(0)
	global_store_dword v3, v1, s[0:1]
.LBB29_2:
	s_endpgm
	.section	.rodata,"a",@progbits
	.p2align	6, 0x0
	.amdhsa_kernel _Z13reduce_kernelILj64ELN6hipcub20BlockReduceAlgorithmE0EjEvPT1_S3_
		.amdhsa_group_segment_fixed_size 0
		.amdhsa_private_segment_fixed_size 0
		.amdhsa_kernarg_size 16
		.amdhsa_user_sgpr_count 6
		.amdhsa_user_sgpr_private_segment_buffer 1
		.amdhsa_user_sgpr_dispatch_ptr 0
		.amdhsa_user_sgpr_queue_ptr 0
		.amdhsa_user_sgpr_kernarg_segment_ptr 1
		.amdhsa_user_sgpr_dispatch_id 0
		.amdhsa_user_sgpr_flat_scratch_init 0
		.amdhsa_user_sgpr_kernarg_preload_length 0
		.amdhsa_user_sgpr_kernarg_preload_offset 0
		.amdhsa_user_sgpr_private_segment_size 0
		.amdhsa_uses_dynamic_stack 0
		.amdhsa_system_sgpr_private_segment_wavefront_offset 0
		.amdhsa_system_sgpr_workgroup_id_x 1
		.amdhsa_system_sgpr_workgroup_id_y 0
		.amdhsa_system_sgpr_workgroup_id_z 0
		.amdhsa_system_sgpr_workgroup_info 0
		.amdhsa_system_vgpr_workitem_id 0
		.amdhsa_next_free_vgpr 6
		.amdhsa_next_free_sgpr 8
		.amdhsa_accum_offset 8
		.amdhsa_reserve_vcc 1
		.amdhsa_reserve_flat_scratch 0
		.amdhsa_float_round_mode_32 0
		.amdhsa_float_round_mode_16_64 0
		.amdhsa_float_denorm_mode_32 3
		.amdhsa_float_denorm_mode_16_64 3
		.amdhsa_dx10_clamp 1
		.amdhsa_ieee_mode 1
		.amdhsa_fp16_overflow 0
		.amdhsa_tg_split 0
		.amdhsa_exception_fp_ieee_invalid_op 0
		.amdhsa_exception_fp_denorm_src 0
		.amdhsa_exception_fp_ieee_div_zero 0
		.amdhsa_exception_fp_ieee_overflow 0
		.amdhsa_exception_fp_ieee_underflow 0
		.amdhsa_exception_fp_ieee_inexact 0
		.amdhsa_exception_int_div_zero 0
	.end_amdhsa_kernel
	.section	.text._Z13reduce_kernelILj64ELN6hipcub20BlockReduceAlgorithmE0EjEvPT1_S3_,"axG",@progbits,_Z13reduce_kernelILj64ELN6hipcub20BlockReduceAlgorithmE0EjEvPT1_S3_,comdat
.Lfunc_end29:
	.size	_Z13reduce_kernelILj64ELN6hipcub20BlockReduceAlgorithmE0EjEvPT1_S3_, .Lfunc_end29-_Z13reduce_kernelILj64ELN6hipcub20BlockReduceAlgorithmE0EjEvPT1_S3_
                                        ; -- End function
	.section	.AMDGPU.csdata,"",@progbits
; Kernel info:
; codeLenInByte = 228
; NumSgprs: 12
; NumVgprs: 6
; NumAgprs: 0
; TotalNumVgprs: 6
; ScratchSize: 0
; MemoryBound: 0
; FloatMode: 240
; IeeeMode: 1
; LDSByteSize: 0 bytes/workgroup (compile time only)
; SGPRBlocks: 1
; VGPRBlocks: 0
; NumSGPRsForWavesPerEU: 12
; NumVGPRsForWavesPerEU: 6
; AccumOffset: 8
; Occupancy: 8
; WaveLimiterHint : 0
; COMPUTE_PGM_RSRC2:SCRATCH_EN: 0
; COMPUTE_PGM_RSRC2:USER_SGPR: 6
; COMPUTE_PGM_RSRC2:TRAP_HANDLER: 0
; COMPUTE_PGM_RSRC2:TGID_X_EN: 1
; COMPUTE_PGM_RSRC2:TGID_Y_EN: 0
; COMPUTE_PGM_RSRC2:TGID_Z_EN: 0
; COMPUTE_PGM_RSRC2:TIDIG_COMP_CNT: 0
; COMPUTE_PGM_RSRC3_GFX90A:ACCUM_OFFSET: 1
; COMPUTE_PGM_RSRC3_GFX90A:TG_SPLIT: 0
	.section	.text._Z13reduce_kernelILj255ELN6hipcub20BlockReduceAlgorithmE0EiEvPT1_S3_,"axG",@progbits,_Z13reduce_kernelILj255ELN6hipcub20BlockReduceAlgorithmE0EiEvPT1_S3_,comdat
	.protected	_Z13reduce_kernelILj255ELN6hipcub20BlockReduceAlgorithmE0EiEvPT1_S3_ ; -- Begin function _Z13reduce_kernelILj255ELN6hipcub20BlockReduceAlgorithmE0EiEvPT1_S3_
	.globl	_Z13reduce_kernelILj255ELN6hipcub20BlockReduceAlgorithmE0EiEvPT1_S3_
	.p2align	8
	.type	_Z13reduce_kernelILj255ELN6hipcub20BlockReduceAlgorithmE0EiEvPT1_S3_,@function
_Z13reduce_kernelILj255ELN6hipcub20BlockReduceAlgorithmE0EiEvPT1_S3_: ; @_Z13reduce_kernelILj255ELN6hipcub20BlockReduceAlgorithmE0EiEvPT1_S3_
; %bb.0:
	s_load_dwordx4 s[0:3], s[4:5], 0x0
	s_mul_i32 s4, s6, 0xff
	v_add_u32_e32 v2, s4, v0
	v_mov_b32_e32 v3, 0
	v_lshlrev_b64 v[2:3], 2, v[2:3]
	s_waitcnt lgkmcnt(0)
	v_mov_b32_e32 v1, s1
	v_add_co_u32_e32 v2, vcc, s0, v2
	v_addc_co_u32_e32 v3, vcc, v1, v3, vcc
	global_load_dword v2, v[2:3], off
	v_mbcnt_lo_u32_b32 v1, -1, 0
	s_movk_i32 s0, 0x100
	v_mbcnt_hi_u32_b32 v1, -1, v1
	v_and_b32_e32 v3, 0xc0, v0
	v_xor_b32_e32 v3, 0xff, v3
	v_and_b32_e32 v4, 63, v1
	v_cmp_gt_u32_e32 vcc, s0, v0
	v_cndmask_b32_e32 v3, 0, v3, vcc
	v_cmp_ne_u32_e32 vcc, 63, v4
	v_addc_co_u32_e32 v10, vcc, 0, v1, vcc
	v_lshlrev_b32_e32 v10, 2, v10
	v_add_u32_e32 v5, 1, v1
	v_cmp_gt_u32_e32 vcc, 62, v4
	v_cndmask_b32_e64 v11, 0, 1, vcc
	v_cmp_lt_u32_e32 vcc, v5, v3
	v_lshlrev_b32_e32 v11, 1, v11
	v_add_lshl_u32 v11, v11, v1, 2
	v_add_u32_e32 v6, 2, v1
	v_add_u32_e32 v7, 4, v1
	;; [unrolled: 1-line block ×4, first 2 shown]
	s_waitcnt vmcnt(0)
	ds_bpermute_b32 v10, v10, v2
	s_waitcnt lgkmcnt(0)
	v_cndmask_b32_e32 v5, 0, v10, vcc
	v_add_u32_e32 v2, v5, v2
	ds_bpermute_b32 v5, v11, v2
	v_cmp_gt_u32_e32 vcc, 60, v4
	v_cndmask_b32_e64 v10, 0, 1, vcc
	v_cmp_lt_u32_e32 vcc, v6, v3
	v_lshlrev_b32_e32 v10, 2, v10
	s_waitcnt lgkmcnt(0)
	v_cndmask_b32_e32 v5, 0, v5, vcc
	v_add_lshl_u32 v10, v10, v1, 2
	v_add_u32_e32 v2, v2, v5
	ds_bpermute_b32 v5, v10, v2
	v_cmp_gt_u32_e32 vcc, 56, v4
	v_cndmask_b32_e64 v6, 0, 1, vcc
	v_cmp_lt_u32_e32 vcc, v7, v3
	v_lshlrev_b32_e32 v6, 3, v6
	s_waitcnt lgkmcnt(0)
	v_cndmask_b32_e32 v5, 0, v5, vcc
	v_add_lshl_u32 v6, v6, v1, 2
	;; [unrolled: 9-line block ×4, first 2 shown]
	v_add_u32_e32 v2, v2, v5
	ds_bpermute_b32 v4, v4, v2
	v_add_u32_e32 v5, 32, v1
	v_cmp_lt_u32_e32 vcc, v5, v3
	s_waitcnt lgkmcnt(0)
	v_cndmask_b32_e32 v3, 0, v4, vcc
	v_add_u32_e32 v2, v2, v3
	v_cmp_eq_u32_e32 vcc, 0, v1
	s_and_saveexec_b64 s[0:1], vcc
	s_cbranch_execz .LBB30_2
; %bb.1:
	v_lshrrev_b32_e32 v3, 4, v0
	v_and_b32_e32 v3, 12, v3
	ds_write_b32 v3, v2
.LBB30_2:
	s_or_b64 exec, exec, s[0:1]
	v_cmp_gt_u32_e32 vcc, 64, v0
	s_waitcnt lgkmcnt(0)
	s_barrier
	s_and_saveexec_b64 s[0:1], vcc
	s_cbranch_execz .LBB30_4
; %bb.3:
	v_and_b32_e32 v2, 3, v1
	v_lshlrev_b32_e32 v3, 2, v2
	ds_read_b32 v3, v3
	v_cmp_ne_u32_e32 vcc, 3, v2
	v_addc_co_u32_e32 v4, vcc, 0, v1, vcc
	v_lshlrev_b32_e32 v4, 2, v4
	s_waitcnt lgkmcnt(0)
	ds_bpermute_b32 v4, v4, v3
	v_cmp_gt_u32_e32 vcc, 2, v2
	v_cndmask_b32_e64 v2, 0, 1, vcc
	v_lshlrev_b32_e32 v2, 1, v2
	v_add_lshl_u32 v1, v2, v1, 2
	s_waitcnt lgkmcnt(0)
	v_add_u32_e32 v3, v4, v3
	ds_bpermute_b32 v1, v1, v3
	s_waitcnt lgkmcnt(0)
	v_add_u32_e32 v2, v1, v3
.LBB30_4:
	s_or_b64 exec, exec, s[0:1]
	s_mov_b32 s7, 0
	v_cmp_eq_u32_e32 vcc, 0, v0
	s_and_saveexec_b64 s[0:1], vcc
	s_cbranch_execz .LBB30_6
; %bb.5:
	s_lshl_b64 s[0:1], s[6:7], 2
	s_add_u32 s0, s2, s0
	s_addc_u32 s1, s3, s1
	v_mov_b32_e32 v0, 0
	global_store_dword v0, v2, s[0:1]
.LBB30_6:
	s_endpgm
	.section	.rodata,"a",@progbits
	.p2align	6, 0x0
	.amdhsa_kernel _Z13reduce_kernelILj255ELN6hipcub20BlockReduceAlgorithmE0EiEvPT1_S3_
		.amdhsa_group_segment_fixed_size 16
		.amdhsa_private_segment_fixed_size 0
		.amdhsa_kernarg_size 16
		.amdhsa_user_sgpr_count 6
		.amdhsa_user_sgpr_private_segment_buffer 1
		.amdhsa_user_sgpr_dispatch_ptr 0
		.amdhsa_user_sgpr_queue_ptr 0
		.amdhsa_user_sgpr_kernarg_segment_ptr 1
		.amdhsa_user_sgpr_dispatch_id 0
		.amdhsa_user_sgpr_flat_scratch_init 0
		.amdhsa_user_sgpr_kernarg_preload_length 0
		.amdhsa_user_sgpr_kernarg_preload_offset 0
		.amdhsa_user_sgpr_private_segment_size 0
		.amdhsa_uses_dynamic_stack 0
		.amdhsa_system_sgpr_private_segment_wavefront_offset 0
		.amdhsa_system_sgpr_workgroup_id_x 1
		.amdhsa_system_sgpr_workgroup_id_y 0
		.amdhsa_system_sgpr_workgroup_id_z 0
		.amdhsa_system_sgpr_workgroup_info 0
		.amdhsa_system_vgpr_workitem_id 0
		.amdhsa_next_free_vgpr 12
		.amdhsa_next_free_sgpr 8
		.amdhsa_accum_offset 12
		.amdhsa_reserve_vcc 1
		.amdhsa_reserve_flat_scratch 0
		.amdhsa_float_round_mode_32 0
		.amdhsa_float_round_mode_16_64 0
		.amdhsa_float_denorm_mode_32 3
		.amdhsa_float_denorm_mode_16_64 3
		.amdhsa_dx10_clamp 1
		.amdhsa_ieee_mode 1
		.amdhsa_fp16_overflow 0
		.amdhsa_tg_split 0
		.amdhsa_exception_fp_ieee_invalid_op 0
		.amdhsa_exception_fp_denorm_src 0
		.amdhsa_exception_fp_ieee_div_zero 0
		.amdhsa_exception_fp_ieee_overflow 0
		.amdhsa_exception_fp_ieee_underflow 0
		.amdhsa_exception_fp_ieee_inexact 0
		.amdhsa_exception_int_div_zero 0
	.end_amdhsa_kernel
	.section	.text._Z13reduce_kernelILj255ELN6hipcub20BlockReduceAlgorithmE0EiEvPT1_S3_,"axG",@progbits,_Z13reduce_kernelILj255ELN6hipcub20BlockReduceAlgorithmE0EiEvPT1_S3_,comdat
.Lfunc_end30:
	.size	_Z13reduce_kernelILj255ELN6hipcub20BlockReduceAlgorithmE0EiEvPT1_S3_, .Lfunc_end30-_Z13reduce_kernelILj255ELN6hipcub20BlockReduceAlgorithmE0EiEvPT1_S3_
                                        ; -- End function
	.section	.AMDGPU.csdata,"",@progbits
; Kernel info:
; codeLenInByte = 596
; NumSgprs: 12
; NumVgprs: 12
; NumAgprs: 0
; TotalNumVgprs: 12
; ScratchSize: 0
; MemoryBound: 0
; FloatMode: 240
; IeeeMode: 1
; LDSByteSize: 16 bytes/workgroup (compile time only)
; SGPRBlocks: 1
; VGPRBlocks: 1
; NumSGPRsForWavesPerEU: 12
; NumVGPRsForWavesPerEU: 12
; AccumOffset: 12
; Occupancy: 8
; WaveLimiterHint : 0
; COMPUTE_PGM_RSRC2:SCRATCH_EN: 0
; COMPUTE_PGM_RSRC2:USER_SGPR: 6
; COMPUTE_PGM_RSRC2:TRAP_HANDLER: 0
; COMPUTE_PGM_RSRC2:TGID_X_EN: 1
; COMPUTE_PGM_RSRC2:TGID_Y_EN: 0
; COMPUTE_PGM_RSRC2:TGID_Z_EN: 0
; COMPUTE_PGM_RSRC2:TIDIG_COMP_CNT: 0
; COMPUTE_PGM_RSRC3_GFX90A:ACCUM_OFFSET: 2
; COMPUTE_PGM_RSRC3_GFX90A:TG_SPLIT: 0
	.section	.text._Z13reduce_kernelILj162ELN6hipcub20BlockReduceAlgorithmE0EiEvPT1_S3_,"axG",@progbits,_Z13reduce_kernelILj162ELN6hipcub20BlockReduceAlgorithmE0EiEvPT1_S3_,comdat
	.protected	_Z13reduce_kernelILj162ELN6hipcub20BlockReduceAlgorithmE0EiEvPT1_S3_ ; -- Begin function _Z13reduce_kernelILj162ELN6hipcub20BlockReduceAlgorithmE0EiEvPT1_S3_
	.globl	_Z13reduce_kernelILj162ELN6hipcub20BlockReduceAlgorithmE0EiEvPT1_S3_
	.p2align	8
	.type	_Z13reduce_kernelILj162ELN6hipcub20BlockReduceAlgorithmE0EiEvPT1_S3_,@function
_Z13reduce_kernelILj162ELN6hipcub20BlockReduceAlgorithmE0EiEvPT1_S3_: ; @_Z13reduce_kernelILj162ELN6hipcub20BlockReduceAlgorithmE0EiEvPT1_S3_
; %bb.0:
	s_load_dwordx4 s[0:3], s[4:5], 0x0
	s_mul_i32 s4, s6, 0xa2
	v_add_u32_e32 v2, s4, v0
	v_mov_b32_e32 v3, 0
	v_lshlrev_b64 v[2:3], 2, v[2:3]
	s_waitcnt lgkmcnt(0)
	v_mov_b32_e32 v1, s1
	v_add_co_u32_e32 v2, vcc, s0, v2
	v_addc_co_u32_e32 v3, vcc, v1, v3, vcc
	global_load_dword v2, v[2:3], off
	v_mbcnt_lo_u32_b32 v1, -1, 0
	s_movk_i32 s0, 0xc0
	v_mbcnt_hi_u32_b32 v1, -1, v1
	v_and_b32_e32 v3, 0xc0, v0
	v_sub_u32_e32 v3, 0xa2, v3
	v_and_b32_e32 v4, 63, v1
	v_cmp_gt_u32_e32 vcc, s0, v0
	v_cndmask_b32_e32 v3, 0, v3, vcc
	v_cmp_ne_u32_e32 vcc, 63, v4
	v_addc_co_u32_e32 v10, vcc, 0, v1, vcc
	v_lshlrev_b32_e32 v10, 2, v10
	v_add_u32_e32 v5, 1, v1
	v_cmp_gt_u32_e32 vcc, 62, v4
	v_cndmask_b32_e64 v11, 0, 1, vcc
	v_cmp_lt_u32_e32 vcc, v5, v3
	v_lshlrev_b32_e32 v11, 1, v11
	v_add_lshl_u32 v11, v11, v1, 2
	v_add_u32_e32 v6, 2, v1
	v_add_u32_e32 v7, 4, v1
	;; [unrolled: 1-line block ×4, first 2 shown]
	s_waitcnt vmcnt(0)
	ds_bpermute_b32 v10, v10, v2
	s_waitcnt lgkmcnt(0)
	v_cndmask_b32_e32 v5, 0, v10, vcc
	v_add_u32_e32 v2, v5, v2
	ds_bpermute_b32 v5, v11, v2
	v_cmp_gt_u32_e32 vcc, 60, v4
	v_cndmask_b32_e64 v10, 0, 1, vcc
	v_cmp_lt_u32_e32 vcc, v6, v3
	v_lshlrev_b32_e32 v10, 2, v10
	s_waitcnt lgkmcnt(0)
	v_cndmask_b32_e32 v5, 0, v5, vcc
	v_add_lshl_u32 v10, v10, v1, 2
	v_add_u32_e32 v2, v2, v5
	ds_bpermute_b32 v5, v10, v2
	v_cmp_gt_u32_e32 vcc, 56, v4
	v_cndmask_b32_e64 v6, 0, 1, vcc
	v_cmp_lt_u32_e32 vcc, v7, v3
	v_lshlrev_b32_e32 v6, 3, v6
	s_waitcnt lgkmcnt(0)
	v_cndmask_b32_e32 v5, 0, v5, vcc
	v_add_lshl_u32 v6, v6, v1, 2
	;; [unrolled: 9-line block ×4, first 2 shown]
	v_add_u32_e32 v2, v2, v5
	ds_bpermute_b32 v4, v4, v2
	v_add_u32_e32 v5, 32, v1
	v_cmp_lt_u32_e32 vcc, v5, v3
	s_waitcnt lgkmcnt(0)
	v_cndmask_b32_e32 v3, 0, v4, vcc
	v_add_u32_e32 v2, v2, v3
	v_cmp_eq_u32_e32 vcc, 0, v1
	s_and_saveexec_b64 s[0:1], vcc
	s_cbranch_execz .LBB31_2
; %bb.1:
	v_lshrrev_b32_e32 v3, 4, v0
	v_and_b32_e32 v3, 12, v3
	ds_write_b32 v3, v2
.LBB31_2:
	s_or_b64 exec, exec, s[0:1]
	v_cmp_gt_u32_e32 vcc, 64, v0
	s_waitcnt lgkmcnt(0)
	s_barrier
	s_and_saveexec_b64 s[0:1], vcc
	s_cbranch_execz .LBB31_4
; %bb.3:
	s_mov_b32 s4, 0x55555556
	v_mul_hi_u32 v2, v1, s4
	v_mul_u32_u24_e32 v2, 3, v2
	v_sub_u32_e32 v2, v1, v2
	v_lshlrev_b32_e32 v2, 2, v2
	ds_read_b32 v2, v2
	v_and_b32_e32 v3, 3, v1
	v_cmp_ne_u32_e32 vcc, 3, v3
	v_addc_co_u32_e32 v4, vcc, 0, v1, vcc
	v_lshlrev_b32_e32 v4, 2, v4
	s_waitcnt lgkmcnt(0)
	ds_bpermute_b32 v4, v4, v2
	v_cmp_gt_u32_e32 vcc, 2, v3
	v_cndmask_b32_e64 v5, 0, 1, vcc
	s_waitcnt lgkmcnt(0)
	v_cndmask_b32_e32 v4, 0, v4, vcc
	v_add_u32_e32 v2, v4, v2
	v_lshlrev_b32_e32 v4, 1, v5
	v_add_lshl_u32 v1, v4, v1, 2
	ds_bpermute_b32 v1, v1, v2
	v_cmp_eq_u32_e32 vcc, 0, v3
	s_waitcnt lgkmcnt(0)
	v_cndmask_b32_e32 v1, 0, v1, vcc
	v_add_u32_e32 v2, v2, v1
.LBB31_4:
	s_or_b64 exec, exec, s[0:1]
	s_mov_b32 s7, 0
	v_cmp_eq_u32_e32 vcc, 0, v0
	s_and_saveexec_b64 s[0:1], vcc
	s_cbranch_execz .LBB31_6
; %bb.5:
	s_lshl_b64 s[0:1], s[6:7], 2
	s_add_u32 s0, s2, s0
	s_addc_u32 s1, s3, s1
	v_mov_b32_e32 v0, 0
	global_store_dword v0, v2, s[0:1]
.LBB31_6:
	s_endpgm
	.section	.rodata,"a",@progbits
	.p2align	6, 0x0
	.amdhsa_kernel _Z13reduce_kernelILj162ELN6hipcub20BlockReduceAlgorithmE0EiEvPT1_S3_
		.amdhsa_group_segment_fixed_size 12
		.amdhsa_private_segment_fixed_size 0
		.amdhsa_kernarg_size 16
		.amdhsa_user_sgpr_count 6
		.amdhsa_user_sgpr_private_segment_buffer 1
		.amdhsa_user_sgpr_dispatch_ptr 0
		.amdhsa_user_sgpr_queue_ptr 0
		.amdhsa_user_sgpr_kernarg_segment_ptr 1
		.amdhsa_user_sgpr_dispatch_id 0
		.amdhsa_user_sgpr_flat_scratch_init 0
		.amdhsa_user_sgpr_kernarg_preload_length 0
		.amdhsa_user_sgpr_kernarg_preload_offset 0
		.amdhsa_user_sgpr_private_segment_size 0
		.amdhsa_uses_dynamic_stack 0
		.amdhsa_system_sgpr_private_segment_wavefront_offset 0
		.amdhsa_system_sgpr_workgroup_id_x 1
		.amdhsa_system_sgpr_workgroup_id_y 0
		.amdhsa_system_sgpr_workgroup_id_z 0
		.amdhsa_system_sgpr_workgroup_info 0
		.amdhsa_system_vgpr_workitem_id 0
		.amdhsa_next_free_vgpr 12
		.amdhsa_next_free_sgpr 8
		.amdhsa_accum_offset 12
		.amdhsa_reserve_vcc 1
		.amdhsa_reserve_flat_scratch 0
		.amdhsa_float_round_mode_32 0
		.amdhsa_float_round_mode_16_64 0
		.amdhsa_float_denorm_mode_32 3
		.amdhsa_float_denorm_mode_16_64 3
		.amdhsa_dx10_clamp 1
		.amdhsa_ieee_mode 1
		.amdhsa_fp16_overflow 0
		.amdhsa_tg_split 0
		.amdhsa_exception_fp_ieee_invalid_op 0
		.amdhsa_exception_fp_denorm_src 0
		.amdhsa_exception_fp_ieee_div_zero 0
		.amdhsa_exception_fp_ieee_overflow 0
		.amdhsa_exception_fp_ieee_underflow 0
		.amdhsa_exception_fp_ieee_inexact 0
		.amdhsa_exception_int_div_zero 0
	.end_amdhsa_kernel
	.section	.text._Z13reduce_kernelILj162ELN6hipcub20BlockReduceAlgorithmE0EiEvPT1_S3_,"axG",@progbits,_Z13reduce_kernelILj162ELN6hipcub20BlockReduceAlgorithmE0EiEvPT1_S3_,comdat
.Lfunc_end31:
	.size	_Z13reduce_kernelILj162ELN6hipcub20BlockReduceAlgorithmE0EiEvPT1_S3_, .Lfunc_end31-_Z13reduce_kernelILj162ELN6hipcub20BlockReduceAlgorithmE0EiEvPT1_S3_
                                        ; -- End function
	.section	.AMDGPU.csdata,"",@progbits
; Kernel info:
; codeLenInByte = 632
; NumSgprs: 12
; NumVgprs: 12
; NumAgprs: 0
; TotalNumVgprs: 12
; ScratchSize: 0
; MemoryBound: 0
; FloatMode: 240
; IeeeMode: 1
; LDSByteSize: 12 bytes/workgroup (compile time only)
; SGPRBlocks: 1
; VGPRBlocks: 1
; NumSGPRsForWavesPerEU: 12
; NumVGPRsForWavesPerEU: 12
; AccumOffset: 12
; Occupancy: 8
; WaveLimiterHint : 0
; COMPUTE_PGM_RSRC2:SCRATCH_EN: 0
; COMPUTE_PGM_RSRC2:USER_SGPR: 6
; COMPUTE_PGM_RSRC2:TRAP_HANDLER: 0
; COMPUTE_PGM_RSRC2:TGID_X_EN: 1
; COMPUTE_PGM_RSRC2:TGID_Y_EN: 0
; COMPUTE_PGM_RSRC2:TGID_Z_EN: 0
; COMPUTE_PGM_RSRC2:TIDIG_COMP_CNT: 0
; COMPUTE_PGM_RSRC3_GFX90A:ACCUM_OFFSET: 2
; COMPUTE_PGM_RSRC3_GFX90A:TG_SPLIT: 0
	.section	.text._Z13reduce_kernelILj129ELN6hipcub20BlockReduceAlgorithmE0EiEvPT1_S3_,"axG",@progbits,_Z13reduce_kernelILj129ELN6hipcub20BlockReduceAlgorithmE0EiEvPT1_S3_,comdat
	.protected	_Z13reduce_kernelILj129ELN6hipcub20BlockReduceAlgorithmE0EiEvPT1_S3_ ; -- Begin function _Z13reduce_kernelILj129ELN6hipcub20BlockReduceAlgorithmE0EiEvPT1_S3_
	.globl	_Z13reduce_kernelILj129ELN6hipcub20BlockReduceAlgorithmE0EiEvPT1_S3_
	.p2align	8
	.type	_Z13reduce_kernelILj129ELN6hipcub20BlockReduceAlgorithmE0EiEvPT1_S3_,@function
_Z13reduce_kernelILj129ELN6hipcub20BlockReduceAlgorithmE0EiEvPT1_S3_: ; @_Z13reduce_kernelILj129ELN6hipcub20BlockReduceAlgorithmE0EiEvPT1_S3_
; %bb.0:
	s_load_dwordx4 s[0:3], s[4:5], 0x0
	s_mul_i32 s4, s6, 0x81
	v_add_u32_e32 v2, s4, v0
	v_mov_b32_e32 v3, 0
	v_lshlrev_b64 v[2:3], 2, v[2:3]
	s_waitcnt lgkmcnt(0)
	v_mov_b32_e32 v1, s1
	v_add_co_u32_e32 v2, vcc, s0, v2
	v_addc_co_u32_e32 v3, vcc, v1, v3, vcc
	global_load_dword v2, v[2:3], off
	v_mbcnt_lo_u32_b32 v1, -1, 0
	s_movk_i32 s0, 0xc0
	v_mbcnt_hi_u32_b32 v1, -1, v1
	v_and_b32_e32 v3, 0xc0, v0
	v_sub_u32_e32 v3, 0x81, v3
	v_and_b32_e32 v4, 63, v1
	v_cmp_gt_u32_e32 vcc, s0, v0
	v_cndmask_b32_e32 v3, 0, v3, vcc
	v_cmp_ne_u32_e32 vcc, 63, v4
	v_addc_co_u32_e32 v10, vcc, 0, v1, vcc
	v_lshlrev_b32_e32 v10, 2, v10
	v_add_u32_e32 v5, 1, v1
	v_cmp_gt_u32_e32 vcc, 62, v4
	v_cndmask_b32_e64 v11, 0, 1, vcc
	v_cmp_lt_u32_e32 vcc, v5, v3
	v_lshlrev_b32_e32 v11, 1, v11
	v_add_lshl_u32 v11, v11, v1, 2
	v_add_u32_e32 v6, 2, v1
	v_add_u32_e32 v7, 4, v1
	;; [unrolled: 1-line block ×4, first 2 shown]
	s_waitcnt vmcnt(0)
	ds_bpermute_b32 v10, v10, v2
	s_waitcnt lgkmcnt(0)
	v_cndmask_b32_e32 v5, 0, v10, vcc
	v_add_u32_e32 v2, v5, v2
	ds_bpermute_b32 v5, v11, v2
	v_cmp_gt_u32_e32 vcc, 60, v4
	v_cndmask_b32_e64 v10, 0, 1, vcc
	v_cmp_lt_u32_e32 vcc, v6, v3
	v_lshlrev_b32_e32 v10, 2, v10
	s_waitcnt lgkmcnt(0)
	v_cndmask_b32_e32 v5, 0, v5, vcc
	v_add_lshl_u32 v10, v10, v1, 2
	v_add_u32_e32 v2, v2, v5
	ds_bpermute_b32 v5, v10, v2
	v_cmp_gt_u32_e32 vcc, 56, v4
	v_cndmask_b32_e64 v6, 0, 1, vcc
	v_cmp_lt_u32_e32 vcc, v7, v3
	v_lshlrev_b32_e32 v6, 3, v6
	s_waitcnt lgkmcnt(0)
	v_cndmask_b32_e32 v5, 0, v5, vcc
	v_add_lshl_u32 v6, v6, v1, 2
	;; [unrolled: 9-line block ×4, first 2 shown]
	v_add_u32_e32 v2, v2, v5
	ds_bpermute_b32 v4, v4, v2
	v_add_u32_e32 v5, 32, v1
	v_cmp_lt_u32_e32 vcc, v5, v3
	s_waitcnt lgkmcnt(0)
	v_cndmask_b32_e32 v3, 0, v4, vcc
	v_add_u32_e32 v2, v2, v3
	v_cmp_eq_u32_e32 vcc, 0, v1
	s_and_saveexec_b64 s[0:1], vcc
	s_cbranch_execz .LBB32_2
; %bb.1:
	v_lshrrev_b32_e32 v3, 4, v0
	v_and_b32_e32 v3, 12, v3
	ds_write_b32 v3, v2
.LBB32_2:
	s_or_b64 exec, exec, s[0:1]
	v_cmp_gt_u32_e32 vcc, 64, v0
	s_waitcnt lgkmcnt(0)
	s_barrier
	s_and_saveexec_b64 s[0:1], vcc
	s_cbranch_execz .LBB32_4
; %bb.3:
	s_mov_b32 s4, 0x55555556
	v_mul_hi_u32 v2, v1, s4
	v_mul_u32_u24_e32 v2, 3, v2
	v_sub_u32_e32 v2, v1, v2
	v_lshlrev_b32_e32 v2, 2, v2
	ds_read_b32 v2, v2
	v_and_b32_e32 v3, 3, v1
	v_cmp_ne_u32_e32 vcc, 3, v3
	v_addc_co_u32_e32 v4, vcc, 0, v1, vcc
	v_lshlrev_b32_e32 v4, 2, v4
	s_waitcnt lgkmcnt(0)
	ds_bpermute_b32 v4, v4, v2
	v_cmp_gt_u32_e32 vcc, 2, v3
	v_cndmask_b32_e64 v5, 0, 1, vcc
	s_waitcnt lgkmcnt(0)
	v_cndmask_b32_e32 v4, 0, v4, vcc
	v_add_u32_e32 v2, v4, v2
	v_lshlrev_b32_e32 v4, 1, v5
	v_add_lshl_u32 v1, v4, v1, 2
	ds_bpermute_b32 v1, v1, v2
	v_cmp_eq_u32_e32 vcc, 0, v3
	s_waitcnt lgkmcnt(0)
	v_cndmask_b32_e32 v1, 0, v1, vcc
	v_add_u32_e32 v2, v2, v1
.LBB32_4:
	s_or_b64 exec, exec, s[0:1]
	s_mov_b32 s7, 0
	v_cmp_eq_u32_e32 vcc, 0, v0
	s_and_saveexec_b64 s[0:1], vcc
	s_cbranch_execz .LBB32_6
; %bb.5:
	s_lshl_b64 s[0:1], s[6:7], 2
	s_add_u32 s0, s2, s0
	s_addc_u32 s1, s3, s1
	v_mov_b32_e32 v0, 0
	global_store_dword v0, v2, s[0:1]
.LBB32_6:
	s_endpgm
	.section	.rodata,"a",@progbits
	.p2align	6, 0x0
	.amdhsa_kernel _Z13reduce_kernelILj129ELN6hipcub20BlockReduceAlgorithmE0EiEvPT1_S3_
		.amdhsa_group_segment_fixed_size 12
		.amdhsa_private_segment_fixed_size 0
		.amdhsa_kernarg_size 16
		.amdhsa_user_sgpr_count 6
		.amdhsa_user_sgpr_private_segment_buffer 1
		.amdhsa_user_sgpr_dispatch_ptr 0
		.amdhsa_user_sgpr_queue_ptr 0
		.amdhsa_user_sgpr_kernarg_segment_ptr 1
		.amdhsa_user_sgpr_dispatch_id 0
		.amdhsa_user_sgpr_flat_scratch_init 0
		.amdhsa_user_sgpr_kernarg_preload_length 0
		.amdhsa_user_sgpr_kernarg_preload_offset 0
		.amdhsa_user_sgpr_private_segment_size 0
		.amdhsa_uses_dynamic_stack 0
		.amdhsa_system_sgpr_private_segment_wavefront_offset 0
		.amdhsa_system_sgpr_workgroup_id_x 1
		.amdhsa_system_sgpr_workgroup_id_y 0
		.amdhsa_system_sgpr_workgroup_id_z 0
		.amdhsa_system_sgpr_workgroup_info 0
		.amdhsa_system_vgpr_workitem_id 0
		.amdhsa_next_free_vgpr 12
		.amdhsa_next_free_sgpr 8
		.amdhsa_accum_offset 12
		.amdhsa_reserve_vcc 1
		.amdhsa_reserve_flat_scratch 0
		.amdhsa_float_round_mode_32 0
		.amdhsa_float_round_mode_16_64 0
		.amdhsa_float_denorm_mode_32 3
		.amdhsa_float_denorm_mode_16_64 3
		.amdhsa_dx10_clamp 1
		.amdhsa_ieee_mode 1
		.amdhsa_fp16_overflow 0
		.amdhsa_tg_split 0
		.amdhsa_exception_fp_ieee_invalid_op 0
		.amdhsa_exception_fp_denorm_src 0
		.amdhsa_exception_fp_ieee_div_zero 0
		.amdhsa_exception_fp_ieee_overflow 0
		.amdhsa_exception_fp_ieee_underflow 0
		.amdhsa_exception_fp_ieee_inexact 0
		.amdhsa_exception_int_div_zero 0
	.end_amdhsa_kernel
	.section	.text._Z13reduce_kernelILj129ELN6hipcub20BlockReduceAlgorithmE0EiEvPT1_S3_,"axG",@progbits,_Z13reduce_kernelILj129ELN6hipcub20BlockReduceAlgorithmE0EiEvPT1_S3_,comdat
.Lfunc_end32:
	.size	_Z13reduce_kernelILj129ELN6hipcub20BlockReduceAlgorithmE0EiEvPT1_S3_, .Lfunc_end32-_Z13reduce_kernelILj129ELN6hipcub20BlockReduceAlgorithmE0EiEvPT1_S3_
                                        ; -- End function
	.section	.AMDGPU.csdata,"",@progbits
; Kernel info:
; codeLenInByte = 632
; NumSgprs: 12
; NumVgprs: 12
; NumAgprs: 0
; TotalNumVgprs: 12
; ScratchSize: 0
; MemoryBound: 0
; FloatMode: 240
; IeeeMode: 1
; LDSByteSize: 12 bytes/workgroup (compile time only)
; SGPRBlocks: 1
; VGPRBlocks: 1
; NumSGPRsForWavesPerEU: 12
; NumVGPRsForWavesPerEU: 12
; AccumOffset: 12
; Occupancy: 8
; WaveLimiterHint : 0
; COMPUTE_PGM_RSRC2:SCRATCH_EN: 0
; COMPUTE_PGM_RSRC2:USER_SGPR: 6
; COMPUTE_PGM_RSRC2:TRAP_HANDLER: 0
; COMPUTE_PGM_RSRC2:TGID_X_EN: 1
; COMPUTE_PGM_RSRC2:TGID_Y_EN: 0
; COMPUTE_PGM_RSRC2:TGID_Z_EN: 0
; COMPUTE_PGM_RSRC2:TIDIG_COMP_CNT: 0
; COMPUTE_PGM_RSRC3_GFX90A:ACCUM_OFFSET: 2
; COMPUTE_PGM_RSRC3_GFX90A:TG_SPLIT: 0
	.section	.text._Z13reduce_kernelILj37ELN6hipcub20BlockReduceAlgorithmE0EiEvPT1_S3_,"axG",@progbits,_Z13reduce_kernelILj37ELN6hipcub20BlockReduceAlgorithmE0EiEvPT1_S3_,comdat
	.protected	_Z13reduce_kernelILj37ELN6hipcub20BlockReduceAlgorithmE0EiEvPT1_S3_ ; -- Begin function _Z13reduce_kernelILj37ELN6hipcub20BlockReduceAlgorithmE0EiEvPT1_S3_
	.globl	_Z13reduce_kernelILj37ELN6hipcub20BlockReduceAlgorithmE0EiEvPT1_S3_
	.p2align	8
	.type	_Z13reduce_kernelILj37ELN6hipcub20BlockReduceAlgorithmE0EiEvPT1_S3_,@function
_Z13reduce_kernelILj37ELN6hipcub20BlockReduceAlgorithmE0EiEvPT1_S3_: ; @_Z13reduce_kernelILj37ELN6hipcub20BlockReduceAlgorithmE0EiEvPT1_S3_
; %bb.0:
	s_load_dwordx4 s[0:3], s[4:5], 0x0
	v_mad_u64_u32 v[2:3], s[4:5], s6, 37, v[0:1]
	v_mov_b32_e32 v3, 0
	v_lshlrev_b64 v[4:5], 2, v[2:3]
	s_waitcnt lgkmcnt(0)
	v_mov_b32_e32 v1, s1
	v_add_co_u32_e32 v4, vcc, s0, v4
	v_addc_co_u32_e32 v5, vcc, v1, v5, vcc
	global_load_dword v2, v[4:5], off
	v_mbcnt_lo_u32_b32 v1, -1, 0
	v_mbcnt_hi_u32_b32 v1, -1, v1
	v_cmp_gt_u32_e32 vcc, 64, v0
	v_and_b32_e32 v5, 63, v1
	v_cndmask_b32_e64 v4, 0, 37, vcc
	v_cmp_ne_u32_e32 vcc, 63, v5
	v_addc_co_u32_e32 v11, vcc, 0, v1, vcc
	v_lshlrev_b32_e32 v11, 2, v11
	v_add_u32_e32 v6, 1, v1
	v_cmp_gt_u32_e32 vcc, 62, v5
	v_cndmask_b32_e64 v12, 0, 1, vcc
	v_cmp_lt_u32_e32 vcc, v6, v4
	v_lshlrev_b32_e32 v12, 1, v12
	v_add_lshl_u32 v12, v12, v1, 2
	v_add_u32_e32 v7, 2, v1
	v_add_u32_e32 v8, 4, v1
	v_add_u32_e32 v9, 8, v1
	v_add_u32_e32 v10, 16, v1
	s_mov_b32 s7, 0
	s_waitcnt vmcnt(0)
	ds_bpermute_b32 v11, v11, v2
	s_waitcnt lgkmcnt(0)
	v_cndmask_b32_e32 v6, 0, v11, vcc
	v_add_u32_e32 v2, v6, v2
	ds_bpermute_b32 v6, v12, v2
	v_cmp_gt_u32_e32 vcc, 60, v5
	v_cndmask_b32_e64 v11, 0, 1, vcc
	v_cmp_lt_u32_e32 vcc, v7, v4
	v_lshlrev_b32_e32 v11, 2, v11
	s_waitcnt lgkmcnt(0)
	v_cndmask_b32_e32 v6, 0, v6, vcc
	v_add_lshl_u32 v11, v11, v1, 2
	v_add_u32_e32 v2, v2, v6
	ds_bpermute_b32 v6, v11, v2
	v_cmp_gt_u32_e32 vcc, 56, v5
	v_cndmask_b32_e64 v7, 0, 1, vcc
	v_cmp_lt_u32_e32 vcc, v8, v4
	v_lshlrev_b32_e32 v7, 3, v7
	s_waitcnt lgkmcnt(0)
	v_cndmask_b32_e32 v6, 0, v6, vcc
	v_add_lshl_u32 v7, v7, v1, 2
	;; [unrolled: 9-line block ×3, first 2 shown]
	v_add_u32_e32 v2, v2, v6
	ds_bpermute_b32 v6, v7, v2
	v_cmp_gt_u32_e32 vcc, 32, v5
	v_cndmask_b32_e64 v5, 0, 1, vcc
	v_cmp_lt_u32_e32 vcc, v10, v4
	v_lshlrev_b32_e32 v5, 5, v5
	s_waitcnt lgkmcnt(0)
	v_cndmask_b32_e32 v4, 0, v6, vcc
	v_add_u32_e32 v2, v2, v4
	v_add_lshl_u32 v4, v5, v1, 2
	ds_bpermute_b32 v4, v4, v2
	v_cmp_eq_u32_e32 vcc, 0, v0
	s_and_saveexec_b64 s[0:1], vcc
	s_cbranch_execz .LBB33_2
; %bb.1:
	v_add_u32_e32 v0, 32, v1
	s_lshl_b64 s[0:1], s[6:7], 2
	v_cmp_gt_u32_e32 vcc, 37, v0
	s_add_u32 s0, s2, s0
	s_waitcnt lgkmcnt(0)
	v_cndmask_b32_e32 v0, 0, v4, vcc
	s_addc_u32 s1, s3, s1
	v_add_u32_e32 v0, v2, v0
	global_store_dword v3, v0, s[0:1]
.LBB33_2:
	s_endpgm
	.section	.rodata,"a",@progbits
	.p2align	6, 0x0
	.amdhsa_kernel _Z13reduce_kernelILj37ELN6hipcub20BlockReduceAlgorithmE0EiEvPT1_S3_
		.amdhsa_group_segment_fixed_size 0
		.amdhsa_private_segment_fixed_size 0
		.amdhsa_kernarg_size 16
		.amdhsa_user_sgpr_count 6
		.amdhsa_user_sgpr_private_segment_buffer 1
		.amdhsa_user_sgpr_dispatch_ptr 0
		.amdhsa_user_sgpr_queue_ptr 0
		.amdhsa_user_sgpr_kernarg_segment_ptr 1
		.amdhsa_user_sgpr_dispatch_id 0
		.amdhsa_user_sgpr_flat_scratch_init 0
		.amdhsa_user_sgpr_kernarg_preload_length 0
		.amdhsa_user_sgpr_kernarg_preload_offset 0
		.amdhsa_user_sgpr_private_segment_size 0
		.amdhsa_uses_dynamic_stack 0
		.amdhsa_system_sgpr_private_segment_wavefront_offset 0
		.amdhsa_system_sgpr_workgroup_id_x 1
		.amdhsa_system_sgpr_workgroup_id_y 0
		.amdhsa_system_sgpr_workgroup_id_z 0
		.amdhsa_system_sgpr_workgroup_info 0
		.amdhsa_system_vgpr_workitem_id 0
		.amdhsa_next_free_vgpr 13
		.amdhsa_next_free_sgpr 8
		.amdhsa_accum_offset 16
		.amdhsa_reserve_vcc 1
		.amdhsa_reserve_flat_scratch 0
		.amdhsa_float_round_mode_32 0
		.amdhsa_float_round_mode_16_64 0
		.amdhsa_float_denorm_mode_32 3
		.amdhsa_float_denorm_mode_16_64 3
		.amdhsa_dx10_clamp 1
		.amdhsa_ieee_mode 1
		.amdhsa_fp16_overflow 0
		.amdhsa_tg_split 0
		.amdhsa_exception_fp_ieee_invalid_op 0
		.amdhsa_exception_fp_denorm_src 0
		.amdhsa_exception_fp_ieee_div_zero 0
		.amdhsa_exception_fp_ieee_overflow 0
		.amdhsa_exception_fp_ieee_underflow 0
		.amdhsa_exception_fp_ieee_inexact 0
		.amdhsa_exception_int_div_zero 0
	.end_amdhsa_kernel
	.section	.text._Z13reduce_kernelILj37ELN6hipcub20BlockReduceAlgorithmE0EiEvPT1_S3_,"axG",@progbits,_Z13reduce_kernelILj37ELN6hipcub20BlockReduceAlgorithmE0EiEvPT1_S3_,comdat
.Lfunc_end33:
	.size	_Z13reduce_kernelILj37ELN6hipcub20BlockReduceAlgorithmE0EiEvPT1_S3_, .Lfunc_end33-_Z13reduce_kernelILj37ELN6hipcub20BlockReduceAlgorithmE0EiEvPT1_S3_
                                        ; -- End function
	.section	.AMDGPU.csdata,"",@progbits
; Kernel info:
; codeLenInByte = 428
; NumSgprs: 12
; NumVgprs: 13
; NumAgprs: 0
; TotalNumVgprs: 13
; ScratchSize: 0
; MemoryBound: 0
; FloatMode: 240
; IeeeMode: 1
; LDSByteSize: 0 bytes/workgroup (compile time only)
; SGPRBlocks: 1
; VGPRBlocks: 1
; NumSGPRsForWavesPerEU: 12
; NumVGPRsForWavesPerEU: 13
; AccumOffset: 16
; Occupancy: 8
; WaveLimiterHint : 0
; COMPUTE_PGM_RSRC2:SCRATCH_EN: 0
; COMPUTE_PGM_RSRC2:USER_SGPR: 6
; COMPUTE_PGM_RSRC2:TRAP_HANDLER: 0
; COMPUTE_PGM_RSRC2:TGID_X_EN: 1
; COMPUTE_PGM_RSRC2:TGID_Y_EN: 0
; COMPUTE_PGM_RSRC2:TGID_Z_EN: 0
; COMPUTE_PGM_RSRC2:TIDIG_COMP_CNT: 0
; COMPUTE_PGM_RSRC3_GFX90A:ACCUM_OFFSET: 3
; COMPUTE_PGM_RSRC3_GFX90A:TG_SPLIT: 0
	.section	.text._Z13reduce_kernelILj65ELN6hipcub20BlockReduceAlgorithmE0EiEvPT1_S3_,"axG",@progbits,_Z13reduce_kernelILj65ELN6hipcub20BlockReduceAlgorithmE0EiEvPT1_S3_,comdat
	.protected	_Z13reduce_kernelILj65ELN6hipcub20BlockReduceAlgorithmE0EiEvPT1_S3_ ; -- Begin function _Z13reduce_kernelILj65ELN6hipcub20BlockReduceAlgorithmE0EiEvPT1_S3_
	.globl	_Z13reduce_kernelILj65ELN6hipcub20BlockReduceAlgorithmE0EiEvPT1_S3_
	.p2align	8
	.type	_Z13reduce_kernelILj65ELN6hipcub20BlockReduceAlgorithmE0EiEvPT1_S3_,@function
_Z13reduce_kernelILj65ELN6hipcub20BlockReduceAlgorithmE0EiEvPT1_S3_: ; @_Z13reduce_kernelILj65ELN6hipcub20BlockReduceAlgorithmE0EiEvPT1_S3_
; %bb.0:
	s_load_dwordx4 s[0:3], s[4:5], 0x0
	s_mul_i32 s4, s6, 0x41
	v_add_u32_e32 v2, s4, v0
	v_mov_b32_e32 v3, 0
	v_lshlrev_b64 v[2:3], 2, v[2:3]
	s_waitcnt lgkmcnt(0)
	v_mov_b32_e32 v1, s1
	v_add_co_u32_e32 v2, vcc, s0, v2
	v_addc_co_u32_e32 v3, vcc, v1, v3, vcc
	global_load_dword v2, v[2:3], off
	v_mbcnt_lo_u32_b32 v1, -1, 0
	s_movk_i32 s0, 0x80
	v_mbcnt_hi_u32_b32 v1, -1, v1
	v_and_b32_e32 v3, 64, v0
	v_xor_b32_e32 v3, 0x41, v3
	v_and_b32_e32 v4, 63, v1
	v_cmp_gt_u32_e32 vcc, s0, v0
	v_cndmask_b32_e32 v3, 0, v3, vcc
	v_cmp_ne_u32_e32 vcc, 63, v4
	v_addc_co_u32_e32 v10, vcc, 0, v1, vcc
	v_lshlrev_b32_e32 v10, 2, v10
	v_add_u32_e32 v5, 1, v1
	v_cmp_gt_u32_e32 vcc, 62, v4
	v_cndmask_b32_e64 v11, 0, 1, vcc
	v_cmp_lt_u32_e32 vcc, v5, v3
	v_lshlrev_b32_e32 v11, 1, v11
	v_add_lshl_u32 v11, v11, v1, 2
	v_add_u32_e32 v6, 2, v1
	v_add_u32_e32 v7, 4, v1
	;; [unrolled: 1-line block ×4, first 2 shown]
	s_waitcnt vmcnt(0)
	ds_bpermute_b32 v10, v10, v2
	s_waitcnt lgkmcnt(0)
	v_cndmask_b32_e32 v5, 0, v10, vcc
	v_add_u32_e32 v2, v5, v2
	ds_bpermute_b32 v5, v11, v2
	v_cmp_gt_u32_e32 vcc, 60, v4
	v_cndmask_b32_e64 v10, 0, 1, vcc
	v_cmp_lt_u32_e32 vcc, v6, v3
	v_lshlrev_b32_e32 v10, 2, v10
	s_waitcnt lgkmcnt(0)
	v_cndmask_b32_e32 v5, 0, v5, vcc
	v_add_lshl_u32 v10, v10, v1, 2
	v_add_u32_e32 v2, v2, v5
	ds_bpermute_b32 v5, v10, v2
	v_cmp_gt_u32_e32 vcc, 56, v4
	v_cndmask_b32_e64 v6, 0, 1, vcc
	v_cmp_lt_u32_e32 vcc, v7, v3
	v_lshlrev_b32_e32 v6, 3, v6
	s_waitcnt lgkmcnt(0)
	v_cndmask_b32_e32 v5, 0, v5, vcc
	v_add_lshl_u32 v6, v6, v1, 2
	v_add_u32_e32 v2, v2, v5
	ds_bpermute_b32 v5, v6, v2
	v_cmp_gt_u32_e32 vcc, 48, v4
	v_cndmask_b32_e64 v6, 0, 1, vcc
	v_cmp_lt_u32_e32 vcc, v8, v3
	v_lshlrev_b32_e32 v6, 4, v6
	s_waitcnt lgkmcnt(0)
	v_cndmask_b32_e32 v5, 0, v5, vcc
	v_add_lshl_u32 v6, v6, v1, 2
	v_add_u32_e32 v2, v2, v5
	ds_bpermute_b32 v5, v6, v2
	v_cmp_gt_u32_e32 vcc, 32, v4
	v_cndmask_b32_e64 v4, 0, 1, vcc
	v_cmp_lt_u32_e32 vcc, v9, v3
	v_lshlrev_b32_e32 v4, 5, v4
	s_waitcnt lgkmcnt(0)
	v_cndmask_b32_e32 v5, 0, v5, vcc
	v_add_lshl_u32 v4, v4, v1, 2
	v_add_u32_e32 v2, v2, v5
	ds_bpermute_b32 v4, v4, v2
	v_add_u32_e32 v5, 32, v1
	v_cmp_lt_u32_e32 vcc, v5, v3
	s_waitcnt lgkmcnt(0)
	v_cndmask_b32_e32 v3, 0, v4, vcc
	v_add_u32_e32 v2, v2, v3
	v_cmp_eq_u32_e32 vcc, 0, v1
	s_and_saveexec_b64 s[0:1], vcc
	s_cbranch_execz .LBB34_2
; %bb.1:
	v_lshrrev_b32_e32 v3, 4, v0
	v_and_b32_e32 v3, 4, v3
	ds_write_b32 v3, v2
.LBB34_2:
	s_or_b64 exec, exec, s[0:1]
	v_cmp_gt_u32_e32 vcc, 64, v0
	s_waitcnt lgkmcnt(0)
	s_barrier
	s_and_saveexec_b64 s[0:1], vcc
	s_cbranch_execz .LBB34_4
; %bb.3:
	v_and_b32_e32 v2, 1, v1
	v_lshlrev_b32_e32 v2, 2, v2
	ds_read_b32 v2, v2
	v_lshl_or_b32 v1, v1, 2, 4
	s_waitcnt lgkmcnt(0)
	ds_bpermute_b32 v1, v1, v2
	s_waitcnt lgkmcnt(0)
	v_add_u32_e32 v2, v1, v2
.LBB34_4:
	s_or_b64 exec, exec, s[0:1]
	s_mov_b32 s7, 0
	v_cmp_eq_u32_e32 vcc, 0, v0
	s_and_saveexec_b64 s[0:1], vcc
	s_cbranch_execz .LBB34_6
; %bb.5:
	s_lshl_b64 s[0:1], s[6:7], 2
	s_add_u32 s0, s2, s0
	s_addc_u32 s1, s3, s1
	v_mov_b32_e32 v0, 0
	global_store_dword v0, v2, s[0:1]
.LBB34_6:
	s_endpgm
	.section	.rodata,"a",@progbits
	.p2align	6, 0x0
	.amdhsa_kernel _Z13reduce_kernelILj65ELN6hipcub20BlockReduceAlgorithmE0EiEvPT1_S3_
		.amdhsa_group_segment_fixed_size 8
		.amdhsa_private_segment_fixed_size 0
		.amdhsa_kernarg_size 16
		.amdhsa_user_sgpr_count 6
		.amdhsa_user_sgpr_private_segment_buffer 1
		.amdhsa_user_sgpr_dispatch_ptr 0
		.amdhsa_user_sgpr_queue_ptr 0
		.amdhsa_user_sgpr_kernarg_segment_ptr 1
		.amdhsa_user_sgpr_dispatch_id 0
		.amdhsa_user_sgpr_flat_scratch_init 0
		.amdhsa_user_sgpr_kernarg_preload_length 0
		.amdhsa_user_sgpr_kernarg_preload_offset 0
		.amdhsa_user_sgpr_private_segment_size 0
		.amdhsa_uses_dynamic_stack 0
		.amdhsa_system_sgpr_private_segment_wavefront_offset 0
		.amdhsa_system_sgpr_workgroup_id_x 1
		.amdhsa_system_sgpr_workgroup_id_y 0
		.amdhsa_system_sgpr_workgroup_id_z 0
		.amdhsa_system_sgpr_workgroup_info 0
		.amdhsa_system_vgpr_workitem_id 0
		.amdhsa_next_free_vgpr 12
		.amdhsa_next_free_sgpr 8
		.amdhsa_accum_offset 12
		.amdhsa_reserve_vcc 1
		.amdhsa_reserve_flat_scratch 0
		.amdhsa_float_round_mode_32 0
		.amdhsa_float_round_mode_16_64 0
		.amdhsa_float_denorm_mode_32 3
		.amdhsa_float_denorm_mode_16_64 3
		.amdhsa_dx10_clamp 1
		.amdhsa_ieee_mode 1
		.amdhsa_fp16_overflow 0
		.amdhsa_tg_split 0
		.amdhsa_exception_fp_ieee_invalid_op 0
		.amdhsa_exception_fp_denorm_src 0
		.amdhsa_exception_fp_ieee_div_zero 0
		.amdhsa_exception_fp_ieee_overflow 0
		.amdhsa_exception_fp_ieee_underflow 0
		.amdhsa_exception_fp_ieee_inexact 0
		.amdhsa_exception_int_div_zero 0
	.end_amdhsa_kernel
	.section	.text._Z13reduce_kernelILj65ELN6hipcub20BlockReduceAlgorithmE0EiEvPT1_S3_,"axG",@progbits,_Z13reduce_kernelILj65ELN6hipcub20BlockReduceAlgorithmE0EiEvPT1_S3_,comdat
.Lfunc_end34:
	.size	_Z13reduce_kernelILj65ELN6hipcub20BlockReduceAlgorithmE0EiEvPT1_S3_, .Lfunc_end34-_Z13reduce_kernelILj65ELN6hipcub20BlockReduceAlgorithmE0EiEvPT1_S3_
                                        ; -- End function
	.section	.AMDGPU.csdata,"",@progbits
; Kernel info:
; codeLenInByte = 548
; NumSgprs: 12
; NumVgprs: 12
; NumAgprs: 0
; TotalNumVgprs: 12
; ScratchSize: 0
; MemoryBound: 0
; FloatMode: 240
; IeeeMode: 1
; LDSByteSize: 8 bytes/workgroup (compile time only)
; SGPRBlocks: 1
; VGPRBlocks: 1
; NumSGPRsForWavesPerEU: 12
; NumVGPRsForWavesPerEU: 12
; AccumOffset: 12
; Occupancy: 8
; WaveLimiterHint : 0
; COMPUTE_PGM_RSRC2:SCRATCH_EN: 0
; COMPUTE_PGM_RSRC2:USER_SGPR: 6
; COMPUTE_PGM_RSRC2:TRAP_HANDLER: 0
; COMPUTE_PGM_RSRC2:TGID_X_EN: 1
; COMPUTE_PGM_RSRC2:TGID_Y_EN: 0
; COMPUTE_PGM_RSRC2:TGID_Z_EN: 0
; COMPUTE_PGM_RSRC2:TIDIG_COMP_CNT: 0
; COMPUTE_PGM_RSRC3_GFX90A:ACCUM_OFFSET: 2
; COMPUTE_PGM_RSRC3_GFX90A:TG_SPLIT: 0
	.section	.text._Z13reduce_kernelILj1024ELN6hipcub20BlockReduceAlgorithmE0EiEvPT1_S3_,"axG",@progbits,_Z13reduce_kernelILj1024ELN6hipcub20BlockReduceAlgorithmE0EiEvPT1_S3_,comdat
	.protected	_Z13reduce_kernelILj1024ELN6hipcub20BlockReduceAlgorithmE0EiEvPT1_S3_ ; -- Begin function _Z13reduce_kernelILj1024ELN6hipcub20BlockReduceAlgorithmE0EiEvPT1_S3_
	.globl	_Z13reduce_kernelILj1024ELN6hipcub20BlockReduceAlgorithmE0EiEvPT1_S3_
	.p2align	8
	.type	_Z13reduce_kernelILj1024ELN6hipcub20BlockReduceAlgorithmE0EiEvPT1_S3_,@function
_Z13reduce_kernelILj1024ELN6hipcub20BlockReduceAlgorithmE0EiEvPT1_S3_: ; @_Z13reduce_kernelILj1024ELN6hipcub20BlockReduceAlgorithmE0EiEvPT1_S3_
; %bb.0:
	s_load_dwordx4 s[0:3], s[4:5], 0x0
	v_lshl_or_b32 v2, s6, 10, v0
	v_mov_b32_e32 v3, 0
	v_lshlrev_b64 v[2:3], 2, v[2:3]
	s_waitcnt lgkmcnt(0)
	v_mov_b32_e32 v1, s1
	v_add_co_u32_e32 v2, vcc, s0, v2
	v_addc_co_u32_e32 v3, vcc, v1, v3, vcc
	global_load_dword v2, v[2:3], off
	v_mbcnt_lo_u32_b32 v1, -1, 0
	v_bfrev_b32_e32 v3, 0.5
	v_mbcnt_hi_u32_b32 v1, -1, v1
	v_lshl_or_b32 v3, v1, 2, v3
	v_cmp_eq_u32_e32 vcc, 0, v1
	s_waitcnt vmcnt(0)
	v_mov_b32_dpp v4, v2 quad_perm:[1,0,3,2] row_mask:0xf bank_mask:0xf
	v_add_u32_e32 v2, v4, v2
	s_nop 1
	v_mov_b32_dpp v4, v2 quad_perm:[2,3,0,1] row_mask:0xf bank_mask:0xf
	v_add_u32_e32 v2, v2, v4
	s_nop 1
	v_mov_b32_dpp v4, v2 row_ror:4 row_mask:0xf bank_mask:0xf
	v_add_u32_e32 v2, v2, v4
	s_nop 1
	v_mov_b32_dpp v4, v2 row_ror:8 row_mask:0xf bank_mask:0xf
	v_add_u32_e32 v2, v2, v4
	s_nop 1
	v_mov_b32_dpp v4, v2 row_bcast:15 row_mask:0xf bank_mask:0xf
	v_add_u32_e32 v2, v2, v4
	s_nop 1
	v_mov_b32_dpp v4, v2 row_bcast:31 row_mask:0xf bank_mask:0xf
	v_add_u32_e32 v2, v2, v4
	ds_bpermute_b32 v2, v3, v2
	s_and_saveexec_b64 s[0:1], vcc
	s_cbranch_execz .LBB35_2
; %bb.1:
	v_lshrrev_b32_e32 v3, 4, v0
	v_and_b32_e32 v3, 60, v3
	s_waitcnt lgkmcnt(0)
	ds_write_b32 v3, v2
.LBB35_2:
	s_or_b64 exec, exec, s[0:1]
	v_cmp_gt_u32_e32 vcc, 64, v0
	s_waitcnt lgkmcnt(0)
	s_barrier
	s_and_saveexec_b64 s[0:1], vcc
	s_cbranch_execz .LBB35_4
; %bb.3:
	v_and_b32_e32 v2, 15, v1
	v_lshlrev_b32_e32 v3, 2, v2
	ds_read_b32 v3, v3
	v_cmp_ne_u32_e32 vcc, 15, v2
	v_addc_co_u32_e32 v4, vcc, 0, v1, vcc
	v_lshlrev_b32_e32 v4, 2, v4
	s_waitcnt lgkmcnt(0)
	ds_bpermute_b32 v4, v4, v3
	v_cmp_gt_u32_e32 vcc, 14, v2
	v_cndmask_b32_e64 v5, 0, 1, vcc
	v_lshlrev_b32_e32 v5, 1, v5
	v_add_lshl_u32 v5, v5, v1, 2
	s_waitcnt lgkmcnt(0)
	v_add_u32_e32 v3, v4, v3
	ds_bpermute_b32 v4, v5, v3
	v_cmp_gt_u32_e32 vcc, 12, v2
	v_cndmask_b32_e64 v5, 0, 1, vcc
	v_lshlrev_b32_e32 v5, 2, v5
	v_add_lshl_u32 v5, v5, v1, 2
	s_waitcnt lgkmcnt(0)
	v_add_u32_e32 v3, v4, v3
	;; [unrolled: 7-line block ×3, first 2 shown]
	ds_bpermute_b32 v1, v1, v3
	s_waitcnt lgkmcnt(0)
	v_add_u32_e32 v2, v1, v3
.LBB35_4:
	s_or_b64 exec, exec, s[0:1]
	s_mov_b32 s7, 0
	v_cmp_eq_u32_e32 vcc, 0, v0
	s_and_saveexec_b64 s[0:1], vcc
	s_cbranch_execz .LBB35_6
; %bb.5:
	s_lshl_b64 s[0:1], s[6:7], 2
	s_add_u32 s0, s2, s0
	s_addc_u32 s1, s3, s1
	v_mov_b32_e32 v0, 0
	global_store_dword v0, v2, s[0:1]
.LBB35_6:
	s_endpgm
	.section	.rodata,"a",@progbits
	.p2align	6, 0x0
	.amdhsa_kernel _Z13reduce_kernelILj1024ELN6hipcub20BlockReduceAlgorithmE0EiEvPT1_S3_
		.amdhsa_group_segment_fixed_size 64
		.amdhsa_private_segment_fixed_size 0
		.amdhsa_kernarg_size 16
		.amdhsa_user_sgpr_count 6
		.amdhsa_user_sgpr_private_segment_buffer 1
		.amdhsa_user_sgpr_dispatch_ptr 0
		.amdhsa_user_sgpr_queue_ptr 0
		.amdhsa_user_sgpr_kernarg_segment_ptr 1
		.amdhsa_user_sgpr_dispatch_id 0
		.amdhsa_user_sgpr_flat_scratch_init 0
		.amdhsa_user_sgpr_kernarg_preload_length 0
		.amdhsa_user_sgpr_kernarg_preload_offset 0
		.amdhsa_user_sgpr_private_segment_size 0
		.amdhsa_uses_dynamic_stack 0
		.amdhsa_system_sgpr_private_segment_wavefront_offset 0
		.amdhsa_system_sgpr_workgroup_id_x 1
		.amdhsa_system_sgpr_workgroup_id_y 0
		.amdhsa_system_sgpr_workgroup_id_z 0
		.amdhsa_system_sgpr_workgroup_info 0
		.amdhsa_system_vgpr_workitem_id 0
		.amdhsa_next_free_vgpr 6
		.amdhsa_next_free_sgpr 8
		.amdhsa_accum_offset 8
		.amdhsa_reserve_vcc 1
		.amdhsa_reserve_flat_scratch 0
		.amdhsa_float_round_mode_32 0
		.amdhsa_float_round_mode_16_64 0
		.amdhsa_float_denorm_mode_32 3
		.amdhsa_float_denorm_mode_16_64 3
		.amdhsa_dx10_clamp 1
		.amdhsa_ieee_mode 1
		.amdhsa_fp16_overflow 0
		.amdhsa_tg_split 0
		.amdhsa_exception_fp_ieee_invalid_op 0
		.amdhsa_exception_fp_denorm_src 0
		.amdhsa_exception_fp_ieee_div_zero 0
		.amdhsa_exception_fp_ieee_overflow 0
		.amdhsa_exception_fp_ieee_underflow 0
		.amdhsa_exception_fp_ieee_inexact 0
		.amdhsa_exception_int_div_zero 0
	.end_amdhsa_kernel
	.section	.text._Z13reduce_kernelILj1024ELN6hipcub20BlockReduceAlgorithmE0EiEvPT1_S3_,"axG",@progbits,_Z13reduce_kernelILj1024ELN6hipcub20BlockReduceAlgorithmE0EiEvPT1_S3_,comdat
.Lfunc_end35:
	.size	_Z13reduce_kernelILj1024ELN6hipcub20BlockReduceAlgorithmE0EiEvPT1_S3_, .Lfunc_end35-_Z13reduce_kernelILj1024ELN6hipcub20BlockReduceAlgorithmE0EiEvPT1_S3_
                                        ; -- End function
	.section	.AMDGPU.csdata,"",@progbits
; Kernel info:
; codeLenInByte = 456
; NumSgprs: 12
; NumVgprs: 6
; NumAgprs: 0
; TotalNumVgprs: 6
; ScratchSize: 0
; MemoryBound: 0
; FloatMode: 240
; IeeeMode: 1
; LDSByteSize: 64 bytes/workgroup (compile time only)
; SGPRBlocks: 1
; VGPRBlocks: 0
; NumSGPRsForWavesPerEU: 12
; NumVGPRsForWavesPerEU: 6
; AccumOffset: 8
; Occupancy: 8
; WaveLimiterHint : 0
; COMPUTE_PGM_RSRC2:SCRATCH_EN: 0
; COMPUTE_PGM_RSRC2:USER_SGPR: 6
; COMPUTE_PGM_RSRC2:TRAP_HANDLER: 0
; COMPUTE_PGM_RSRC2:TGID_X_EN: 1
; COMPUTE_PGM_RSRC2:TGID_Y_EN: 0
; COMPUTE_PGM_RSRC2:TGID_Z_EN: 0
; COMPUTE_PGM_RSRC2:TIDIG_COMP_CNT: 0
; COMPUTE_PGM_RSRC3_GFX90A:ACCUM_OFFSET: 1
; COMPUTE_PGM_RSRC3_GFX90A:TG_SPLIT: 0
	.section	.text._Z13reduce_kernelILj512ELN6hipcub20BlockReduceAlgorithmE0EiEvPT1_S3_,"axG",@progbits,_Z13reduce_kernelILj512ELN6hipcub20BlockReduceAlgorithmE0EiEvPT1_S3_,comdat
	.protected	_Z13reduce_kernelILj512ELN6hipcub20BlockReduceAlgorithmE0EiEvPT1_S3_ ; -- Begin function _Z13reduce_kernelILj512ELN6hipcub20BlockReduceAlgorithmE0EiEvPT1_S3_
	.globl	_Z13reduce_kernelILj512ELN6hipcub20BlockReduceAlgorithmE0EiEvPT1_S3_
	.p2align	8
	.type	_Z13reduce_kernelILj512ELN6hipcub20BlockReduceAlgorithmE0EiEvPT1_S3_,@function
_Z13reduce_kernelILj512ELN6hipcub20BlockReduceAlgorithmE0EiEvPT1_S3_: ; @_Z13reduce_kernelILj512ELN6hipcub20BlockReduceAlgorithmE0EiEvPT1_S3_
; %bb.0:
	s_load_dwordx4 s[0:3], s[4:5], 0x0
	v_lshl_or_b32 v2, s6, 9, v0
	v_mov_b32_e32 v3, 0
	v_lshlrev_b64 v[2:3], 2, v[2:3]
	s_waitcnt lgkmcnt(0)
	v_mov_b32_e32 v1, s1
	v_add_co_u32_e32 v2, vcc, s0, v2
	v_addc_co_u32_e32 v3, vcc, v1, v3, vcc
	global_load_dword v2, v[2:3], off
	v_mbcnt_lo_u32_b32 v1, -1, 0
	v_bfrev_b32_e32 v3, 0.5
	v_mbcnt_hi_u32_b32 v1, -1, v1
	v_lshl_or_b32 v3, v1, 2, v3
	v_cmp_eq_u32_e32 vcc, 0, v1
	s_waitcnt vmcnt(0)
	v_mov_b32_dpp v4, v2 quad_perm:[1,0,3,2] row_mask:0xf bank_mask:0xf
	v_add_u32_e32 v2, v4, v2
	s_nop 1
	v_mov_b32_dpp v4, v2 quad_perm:[2,3,0,1] row_mask:0xf bank_mask:0xf
	v_add_u32_e32 v2, v2, v4
	s_nop 1
	v_mov_b32_dpp v4, v2 row_ror:4 row_mask:0xf bank_mask:0xf
	v_add_u32_e32 v2, v2, v4
	s_nop 1
	v_mov_b32_dpp v4, v2 row_ror:8 row_mask:0xf bank_mask:0xf
	v_add_u32_e32 v2, v2, v4
	s_nop 1
	v_mov_b32_dpp v4, v2 row_bcast:15 row_mask:0xf bank_mask:0xf
	v_add_u32_e32 v2, v2, v4
	s_nop 1
	v_mov_b32_dpp v4, v2 row_bcast:31 row_mask:0xf bank_mask:0xf
	v_add_u32_e32 v2, v2, v4
	ds_bpermute_b32 v2, v3, v2
	s_and_saveexec_b64 s[0:1], vcc
	s_cbranch_execz .LBB36_2
; %bb.1:
	v_lshrrev_b32_e32 v3, 4, v0
	v_and_b32_e32 v3, 28, v3
	s_waitcnt lgkmcnt(0)
	ds_write_b32 v3, v2
.LBB36_2:
	s_or_b64 exec, exec, s[0:1]
	v_cmp_gt_u32_e32 vcc, 64, v0
	s_waitcnt lgkmcnt(0)
	s_barrier
	s_and_saveexec_b64 s[0:1], vcc
	s_cbranch_execz .LBB36_4
; %bb.3:
	v_and_b32_e32 v2, 7, v1
	v_lshlrev_b32_e32 v3, 2, v2
	ds_read_b32 v3, v3
	v_cmp_ne_u32_e32 vcc, 7, v2
	v_addc_co_u32_e32 v4, vcc, 0, v1, vcc
	v_lshlrev_b32_e32 v4, 2, v4
	s_waitcnt lgkmcnt(0)
	ds_bpermute_b32 v4, v4, v3
	v_cmp_gt_u32_e32 vcc, 6, v2
	v_cndmask_b32_e64 v5, 0, 1, vcc
	v_lshlrev_b32_e32 v5, 1, v5
	v_add_lshl_u32 v5, v5, v1, 2
	s_waitcnt lgkmcnt(0)
	v_add_u32_e32 v3, v4, v3
	ds_bpermute_b32 v4, v5, v3
	v_cmp_gt_u32_e32 vcc, 4, v2
	v_cndmask_b32_e64 v2, 0, 1, vcc
	v_lshlrev_b32_e32 v2, 2, v2
	v_add_lshl_u32 v1, v2, v1, 2
	s_waitcnt lgkmcnt(0)
	v_add_u32_e32 v3, v4, v3
	ds_bpermute_b32 v1, v1, v3
	s_waitcnt lgkmcnt(0)
	v_add_u32_e32 v2, v1, v3
.LBB36_4:
	s_or_b64 exec, exec, s[0:1]
	s_mov_b32 s7, 0
	v_cmp_eq_u32_e32 vcc, 0, v0
	s_and_saveexec_b64 s[0:1], vcc
	s_cbranch_execz .LBB36_6
; %bb.5:
	s_lshl_b64 s[0:1], s[6:7], 2
	s_add_u32 s0, s2, s0
	s_addc_u32 s1, s3, s1
	v_mov_b32_e32 v0, 0
	global_store_dword v0, v2, s[0:1]
.LBB36_6:
	s_endpgm
	.section	.rodata,"a",@progbits
	.p2align	6, 0x0
	.amdhsa_kernel _Z13reduce_kernelILj512ELN6hipcub20BlockReduceAlgorithmE0EiEvPT1_S3_
		.amdhsa_group_segment_fixed_size 32
		.amdhsa_private_segment_fixed_size 0
		.amdhsa_kernarg_size 16
		.amdhsa_user_sgpr_count 6
		.amdhsa_user_sgpr_private_segment_buffer 1
		.amdhsa_user_sgpr_dispatch_ptr 0
		.amdhsa_user_sgpr_queue_ptr 0
		.amdhsa_user_sgpr_kernarg_segment_ptr 1
		.amdhsa_user_sgpr_dispatch_id 0
		.amdhsa_user_sgpr_flat_scratch_init 0
		.amdhsa_user_sgpr_kernarg_preload_length 0
		.amdhsa_user_sgpr_kernarg_preload_offset 0
		.amdhsa_user_sgpr_private_segment_size 0
		.amdhsa_uses_dynamic_stack 0
		.amdhsa_system_sgpr_private_segment_wavefront_offset 0
		.amdhsa_system_sgpr_workgroup_id_x 1
		.amdhsa_system_sgpr_workgroup_id_y 0
		.amdhsa_system_sgpr_workgroup_id_z 0
		.amdhsa_system_sgpr_workgroup_info 0
		.amdhsa_system_vgpr_workitem_id 0
		.amdhsa_next_free_vgpr 6
		.amdhsa_next_free_sgpr 8
		.amdhsa_accum_offset 8
		.amdhsa_reserve_vcc 1
		.amdhsa_reserve_flat_scratch 0
		.amdhsa_float_round_mode_32 0
		.amdhsa_float_round_mode_16_64 0
		.amdhsa_float_denorm_mode_32 3
		.amdhsa_float_denorm_mode_16_64 3
		.amdhsa_dx10_clamp 1
		.amdhsa_ieee_mode 1
		.amdhsa_fp16_overflow 0
		.amdhsa_tg_split 0
		.amdhsa_exception_fp_ieee_invalid_op 0
		.amdhsa_exception_fp_denorm_src 0
		.amdhsa_exception_fp_ieee_div_zero 0
		.amdhsa_exception_fp_ieee_overflow 0
		.amdhsa_exception_fp_ieee_underflow 0
		.amdhsa_exception_fp_ieee_inexact 0
		.amdhsa_exception_int_div_zero 0
	.end_amdhsa_kernel
	.section	.text._Z13reduce_kernelILj512ELN6hipcub20BlockReduceAlgorithmE0EiEvPT1_S3_,"axG",@progbits,_Z13reduce_kernelILj512ELN6hipcub20BlockReduceAlgorithmE0EiEvPT1_S3_,comdat
.Lfunc_end36:
	.size	_Z13reduce_kernelILj512ELN6hipcub20BlockReduceAlgorithmE0EiEvPT1_S3_, .Lfunc_end36-_Z13reduce_kernelILj512ELN6hipcub20BlockReduceAlgorithmE0EiEvPT1_S3_
                                        ; -- End function
	.section	.AMDGPU.csdata,"",@progbits
; Kernel info:
; codeLenInByte = 416
; NumSgprs: 12
; NumVgprs: 6
; NumAgprs: 0
; TotalNumVgprs: 6
; ScratchSize: 0
; MemoryBound: 0
; FloatMode: 240
; IeeeMode: 1
; LDSByteSize: 32 bytes/workgroup (compile time only)
; SGPRBlocks: 1
; VGPRBlocks: 0
; NumSGPRsForWavesPerEU: 12
; NumVGPRsForWavesPerEU: 6
; AccumOffset: 8
; Occupancy: 8
; WaveLimiterHint : 0
; COMPUTE_PGM_RSRC2:SCRATCH_EN: 0
; COMPUTE_PGM_RSRC2:USER_SGPR: 6
; COMPUTE_PGM_RSRC2:TRAP_HANDLER: 0
; COMPUTE_PGM_RSRC2:TGID_X_EN: 1
; COMPUTE_PGM_RSRC2:TGID_Y_EN: 0
; COMPUTE_PGM_RSRC2:TGID_Z_EN: 0
; COMPUTE_PGM_RSRC2:TIDIG_COMP_CNT: 0
; COMPUTE_PGM_RSRC3_GFX90A:ACCUM_OFFSET: 1
; COMPUTE_PGM_RSRC3_GFX90A:TG_SPLIT: 0
	.section	.text._Z13reduce_kernelILj256ELN6hipcub20BlockReduceAlgorithmE0EiEvPT1_S3_,"axG",@progbits,_Z13reduce_kernelILj256ELN6hipcub20BlockReduceAlgorithmE0EiEvPT1_S3_,comdat
	.protected	_Z13reduce_kernelILj256ELN6hipcub20BlockReduceAlgorithmE0EiEvPT1_S3_ ; -- Begin function _Z13reduce_kernelILj256ELN6hipcub20BlockReduceAlgorithmE0EiEvPT1_S3_
	.globl	_Z13reduce_kernelILj256ELN6hipcub20BlockReduceAlgorithmE0EiEvPT1_S3_
	.p2align	8
	.type	_Z13reduce_kernelILj256ELN6hipcub20BlockReduceAlgorithmE0EiEvPT1_S3_,@function
_Z13reduce_kernelILj256ELN6hipcub20BlockReduceAlgorithmE0EiEvPT1_S3_: ; @_Z13reduce_kernelILj256ELN6hipcub20BlockReduceAlgorithmE0EiEvPT1_S3_
; %bb.0:
	s_load_dwordx4 s[0:3], s[4:5], 0x0
	v_lshl_or_b32 v2, s6, 8, v0
	v_mov_b32_e32 v3, 0
	v_lshlrev_b64 v[2:3], 2, v[2:3]
	s_waitcnt lgkmcnt(0)
	v_mov_b32_e32 v1, s1
	v_add_co_u32_e32 v2, vcc, s0, v2
	v_addc_co_u32_e32 v3, vcc, v1, v3, vcc
	global_load_dword v2, v[2:3], off
	v_mbcnt_lo_u32_b32 v1, -1, 0
	v_bfrev_b32_e32 v3, 0.5
	v_mbcnt_hi_u32_b32 v1, -1, v1
	v_lshl_or_b32 v3, v1, 2, v3
	v_cmp_eq_u32_e32 vcc, 0, v1
	s_waitcnt vmcnt(0)
	v_mov_b32_dpp v4, v2 quad_perm:[1,0,3,2] row_mask:0xf bank_mask:0xf
	v_add_u32_e32 v2, v4, v2
	s_nop 1
	v_mov_b32_dpp v4, v2 quad_perm:[2,3,0,1] row_mask:0xf bank_mask:0xf
	v_add_u32_e32 v2, v2, v4
	s_nop 1
	v_mov_b32_dpp v4, v2 row_ror:4 row_mask:0xf bank_mask:0xf
	v_add_u32_e32 v2, v2, v4
	s_nop 1
	v_mov_b32_dpp v4, v2 row_ror:8 row_mask:0xf bank_mask:0xf
	v_add_u32_e32 v2, v2, v4
	s_nop 1
	v_mov_b32_dpp v4, v2 row_bcast:15 row_mask:0xf bank_mask:0xf
	v_add_u32_e32 v2, v2, v4
	s_nop 1
	v_mov_b32_dpp v4, v2 row_bcast:31 row_mask:0xf bank_mask:0xf
	v_add_u32_e32 v2, v2, v4
	ds_bpermute_b32 v2, v3, v2
	s_and_saveexec_b64 s[0:1], vcc
	s_cbranch_execz .LBB37_2
; %bb.1:
	v_lshrrev_b32_e32 v3, 4, v0
	v_and_b32_e32 v3, 12, v3
	s_waitcnt lgkmcnt(0)
	ds_write_b32 v3, v2
.LBB37_2:
	s_or_b64 exec, exec, s[0:1]
	v_cmp_gt_u32_e32 vcc, 64, v0
	s_waitcnt lgkmcnt(0)
	s_barrier
	s_and_saveexec_b64 s[0:1], vcc
	s_cbranch_execz .LBB37_4
; %bb.3:
	v_and_b32_e32 v2, 3, v1
	v_lshlrev_b32_e32 v3, 2, v2
	ds_read_b32 v3, v3
	v_cmp_ne_u32_e32 vcc, 3, v2
	v_addc_co_u32_e32 v4, vcc, 0, v1, vcc
	v_lshlrev_b32_e32 v4, 2, v4
	s_waitcnt lgkmcnt(0)
	ds_bpermute_b32 v4, v4, v3
	v_cmp_gt_u32_e32 vcc, 2, v2
	v_cndmask_b32_e64 v2, 0, 1, vcc
	v_lshlrev_b32_e32 v2, 1, v2
	v_add_lshl_u32 v1, v2, v1, 2
	s_waitcnt lgkmcnt(0)
	v_add_u32_e32 v3, v4, v3
	ds_bpermute_b32 v1, v1, v3
	s_waitcnt lgkmcnt(0)
	v_add_u32_e32 v2, v1, v3
.LBB37_4:
	s_or_b64 exec, exec, s[0:1]
	s_mov_b32 s7, 0
	v_cmp_eq_u32_e32 vcc, 0, v0
	s_and_saveexec_b64 s[0:1], vcc
	s_cbranch_execz .LBB37_6
; %bb.5:
	s_lshl_b64 s[0:1], s[6:7], 2
	s_add_u32 s0, s2, s0
	s_addc_u32 s1, s3, s1
	v_mov_b32_e32 v0, 0
	global_store_dword v0, v2, s[0:1]
.LBB37_6:
	s_endpgm
	.section	.rodata,"a",@progbits
	.p2align	6, 0x0
	.amdhsa_kernel _Z13reduce_kernelILj256ELN6hipcub20BlockReduceAlgorithmE0EiEvPT1_S3_
		.amdhsa_group_segment_fixed_size 16
		.amdhsa_private_segment_fixed_size 0
		.amdhsa_kernarg_size 16
		.amdhsa_user_sgpr_count 6
		.amdhsa_user_sgpr_private_segment_buffer 1
		.amdhsa_user_sgpr_dispatch_ptr 0
		.amdhsa_user_sgpr_queue_ptr 0
		.amdhsa_user_sgpr_kernarg_segment_ptr 1
		.amdhsa_user_sgpr_dispatch_id 0
		.amdhsa_user_sgpr_flat_scratch_init 0
		.amdhsa_user_sgpr_kernarg_preload_length 0
		.amdhsa_user_sgpr_kernarg_preload_offset 0
		.amdhsa_user_sgpr_private_segment_size 0
		.amdhsa_uses_dynamic_stack 0
		.amdhsa_system_sgpr_private_segment_wavefront_offset 0
		.amdhsa_system_sgpr_workgroup_id_x 1
		.amdhsa_system_sgpr_workgroup_id_y 0
		.amdhsa_system_sgpr_workgroup_id_z 0
		.amdhsa_system_sgpr_workgroup_info 0
		.amdhsa_system_vgpr_workitem_id 0
		.amdhsa_next_free_vgpr 5
		.amdhsa_next_free_sgpr 8
		.amdhsa_accum_offset 8
		.amdhsa_reserve_vcc 1
		.amdhsa_reserve_flat_scratch 0
		.amdhsa_float_round_mode_32 0
		.amdhsa_float_round_mode_16_64 0
		.amdhsa_float_denorm_mode_32 3
		.amdhsa_float_denorm_mode_16_64 3
		.amdhsa_dx10_clamp 1
		.amdhsa_ieee_mode 1
		.amdhsa_fp16_overflow 0
		.amdhsa_tg_split 0
		.amdhsa_exception_fp_ieee_invalid_op 0
		.amdhsa_exception_fp_denorm_src 0
		.amdhsa_exception_fp_ieee_div_zero 0
		.amdhsa_exception_fp_ieee_overflow 0
		.amdhsa_exception_fp_ieee_underflow 0
		.amdhsa_exception_fp_ieee_inexact 0
		.amdhsa_exception_int_div_zero 0
	.end_amdhsa_kernel
	.section	.text._Z13reduce_kernelILj256ELN6hipcub20BlockReduceAlgorithmE0EiEvPT1_S3_,"axG",@progbits,_Z13reduce_kernelILj256ELN6hipcub20BlockReduceAlgorithmE0EiEvPT1_S3_,comdat
.Lfunc_end37:
	.size	_Z13reduce_kernelILj256ELN6hipcub20BlockReduceAlgorithmE0EiEvPT1_S3_, .Lfunc_end37-_Z13reduce_kernelILj256ELN6hipcub20BlockReduceAlgorithmE0EiEvPT1_S3_
                                        ; -- End function
	.section	.AMDGPU.csdata,"",@progbits
; Kernel info:
; codeLenInByte = 376
; NumSgprs: 12
; NumVgprs: 5
; NumAgprs: 0
; TotalNumVgprs: 5
; ScratchSize: 0
; MemoryBound: 0
; FloatMode: 240
; IeeeMode: 1
; LDSByteSize: 16 bytes/workgroup (compile time only)
; SGPRBlocks: 1
; VGPRBlocks: 0
; NumSGPRsForWavesPerEU: 12
; NumVGPRsForWavesPerEU: 5
; AccumOffset: 8
; Occupancy: 8
; WaveLimiterHint : 0
; COMPUTE_PGM_RSRC2:SCRATCH_EN: 0
; COMPUTE_PGM_RSRC2:USER_SGPR: 6
; COMPUTE_PGM_RSRC2:TRAP_HANDLER: 0
; COMPUTE_PGM_RSRC2:TGID_X_EN: 1
; COMPUTE_PGM_RSRC2:TGID_Y_EN: 0
; COMPUTE_PGM_RSRC2:TGID_Z_EN: 0
; COMPUTE_PGM_RSRC2:TIDIG_COMP_CNT: 0
; COMPUTE_PGM_RSRC3_GFX90A:ACCUM_OFFSET: 1
; COMPUTE_PGM_RSRC3_GFX90A:TG_SPLIT: 0
	.section	.text._Z13reduce_kernelILj192ELN6hipcub20BlockReduceAlgorithmE0EiEvPT1_S3_,"axG",@progbits,_Z13reduce_kernelILj192ELN6hipcub20BlockReduceAlgorithmE0EiEvPT1_S3_,comdat
	.protected	_Z13reduce_kernelILj192ELN6hipcub20BlockReduceAlgorithmE0EiEvPT1_S3_ ; -- Begin function _Z13reduce_kernelILj192ELN6hipcub20BlockReduceAlgorithmE0EiEvPT1_S3_
	.globl	_Z13reduce_kernelILj192ELN6hipcub20BlockReduceAlgorithmE0EiEvPT1_S3_
	.p2align	8
	.type	_Z13reduce_kernelILj192ELN6hipcub20BlockReduceAlgorithmE0EiEvPT1_S3_,@function
_Z13reduce_kernelILj192ELN6hipcub20BlockReduceAlgorithmE0EiEvPT1_S3_: ; @_Z13reduce_kernelILj192ELN6hipcub20BlockReduceAlgorithmE0EiEvPT1_S3_
; %bb.0:
	s_load_dwordx4 s[0:3], s[4:5], 0x0
	s_mul_i32 s4, s6, 0xc0
	v_add_u32_e32 v2, s4, v0
	v_mov_b32_e32 v3, 0
	v_lshlrev_b64 v[2:3], 2, v[2:3]
	s_waitcnt lgkmcnt(0)
	v_mov_b32_e32 v1, s1
	v_add_co_u32_e32 v2, vcc, s0, v2
	v_addc_co_u32_e32 v3, vcc, v1, v3, vcc
	global_load_dword v2, v[2:3], off
	v_mbcnt_lo_u32_b32 v1, -1, 0
	v_bfrev_b32_e32 v3, 0.5
	v_mbcnt_hi_u32_b32 v1, -1, v1
	v_lshl_or_b32 v3, v1, 2, v3
	v_cmp_eq_u32_e32 vcc, 0, v1
	s_waitcnt vmcnt(0)
	v_mov_b32_dpp v4, v2 quad_perm:[1,0,3,2] row_mask:0xf bank_mask:0xf
	v_add_u32_e32 v2, v4, v2
	s_nop 1
	v_mov_b32_dpp v4, v2 quad_perm:[2,3,0,1] row_mask:0xf bank_mask:0xf
	v_add_u32_e32 v2, v2, v4
	s_nop 1
	v_mov_b32_dpp v4, v2 row_ror:4 row_mask:0xf bank_mask:0xf
	v_add_u32_e32 v2, v2, v4
	s_nop 1
	v_mov_b32_dpp v4, v2 row_ror:8 row_mask:0xf bank_mask:0xf
	v_add_u32_e32 v2, v2, v4
	s_nop 1
	v_mov_b32_dpp v4, v2 row_bcast:15 row_mask:0xf bank_mask:0xf
	v_add_u32_e32 v2, v2, v4
	s_nop 1
	v_mov_b32_dpp v4, v2 row_bcast:31 row_mask:0xf bank_mask:0xf
	v_add_u32_e32 v2, v2, v4
	ds_bpermute_b32 v2, v3, v2
	s_and_saveexec_b64 s[0:1], vcc
	s_cbranch_execz .LBB38_2
; %bb.1:
	v_lshrrev_b32_e32 v3, 4, v0
	v_and_b32_e32 v3, 12, v3
	s_waitcnt lgkmcnt(0)
	ds_write_b32 v3, v2
.LBB38_2:
	s_or_b64 exec, exec, s[0:1]
	v_cmp_gt_u32_e32 vcc, 64, v0
	s_waitcnt lgkmcnt(0)
	s_barrier
	s_and_saveexec_b64 s[0:1], vcc
	s_cbranch_execz .LBB38_4
; %bb.3:
	s_mov_b32 s4, 0x55555556
	v_mul_hi_u32 v2, v1, s4
	v_mul_u32_u24_e32 v2, 3, v2
	v_sub_u32_e32 v2, v1, v2
	v_lshlrev_b32_e32 v2, 2, v2
	ds_read_b32 v2, v2
	v_and_b32_e32 v3, 3, v1
	v_cmp_ne_u32_e32 vcc, 3, v3
	v_addc_co_u32_e32 v4, vcc, 0, v1, vcc
	v_lshlrev_b32_e32 v4, 2, v4
	s_waitcnt lgkmcnt(0)
	ds_bpermute_b32 v4, v4, v2
	v_cmp_gt_u32_e32 vcc, 2, v3
	v_cndmask_b32_e64 v5, 0, 1, vcc
	s_waitcnt lgkmcnt(0)
	v_cndmask_b32_e32 v4, 0, v4, vcc
	v_add_u32_e32 v2, v4, v2
	v_lshlrev_b32_e32 v4, 1, v5
	v_add_lshl_u32 v1, v4, v1, 2
	ds_bpermute_b32 v1, v1, v2
	v_cmp_eq_u32_e32 vcc, 0, v3
	s_waitcnt lgkmcnt(0)
	v_cndmask_b32_e32 v1, 0, v1, vcc
	v_add_u32_e32 v2, v2, v1
.LBB38_4:
	s_or_b64 exec, exec, s[0:1]
	s_mov_b32 s7, 0
	v_cmp_eq_u32_e32 vcc, 0, v0
	s_and_saveexec_b64 s[0:1], vcc
	s_cbranch_execz .LBB38_6
; %bb.5:
	s_lshl_b64 s[0:1], s[6:7], 2
	s_add_u32 s0, s2, s0
	s_addc_u32 s1, s3, s1
	v_mov_b32_e32 v0, 0
	global_store_dword v0, v2, s[0:1]
.LBB38_6:
	s_endpgm
	.section	.rodata,"a",@progbits
	.p2align	6, 0x0
	.amdhsa_kernel _Z13reduce_kernelILj192ELN6hipcub20BlockReduceAlgorithmE0EiEvPT1_S3_
		.amdhsa_group_segment_fixed_size 12
		.amdhsa_private_segment_fixed_size 0
		.amdhsa_kernarg_size 16
		.amdhsa_user_sgpr_count 6
		.amdhsa_user_sgpr_private_segment_buffer 1
		.amdhsa_user_sgpr_dispatch_ptr 0
		.amdhsa_user_sgpr_queue_ptr 0
		.amdhsa_user_sgpr_kernarg_segment_ptr 1
		.amdhsa_user_sgpr_dispatch_id 0
		.amdhsa_user_sgpr_flat_scratch_init 0
		.amdhsa_user_sgpr_kernarg_preload_length 0
		.amdhsa_user_sgpr_kernarg_preload_offset 0
		.amdhsa_user_sgpr_private_segment_size 0
		.amdhsa_uses_dynamic_stack 0
		.amdhsa_system_sgpr_private_segment_wavefront_offset 0
		.amdhsa_system_sgpr_workgroup_id_x 1
		.amdhsa_system_sgpr_workgroup_id_y 0
		.amdhsa_system_sgpr_workgroup_id_z 0
		.amdhsa_system_sgpr_workgroup_info 0
		.amdhsa_system_vgpr_workitem_id 0
		.amdhsa_next_free_vgpr 6
		.amdhsa_next_free_sgpr 8
		.amdhsa_accum_offset 8
		.amdhsa_reserve_vcc 1
		.amdhsa_reserve_flat_scratch 0
		.amdhsa_float_round_mode_32 0
		.amdhsa_float_round_mode_16_64 0
		.amdhsa_float_denorm_mode_32 3
		.amdhsa_float_denorm_mode_16_64 3
		.amdhsa_dx10_clamp 1
		.amdhsa_ieee_mode 1
		.amdhsa_fp16_overflow 0
		.amdhsa_tg_split 0
		.amdhsa_exception_fp_ieee_invalid_op 0
		.amdhsa_exception_fp_denorm_src 0
		.amdhsa_exception_fp_ieee_div_zero 0
		.amdhsa_exception_fp_ieee_overflow 0
		.amdhsa_exception_fp_ieee_underflow 0
		.amdhsa_exception_fp_ieee_inexact 0
		.amdhsa_exception_int_div_zero 0
	.end_amdhsa_kernel
	.section	.text._Z13reduce_kernelILj192ELN6hipcub20BlockReduceAlgorithmE0EiEvPT1_S3_,"axG",@progbits,_Z13reduce_kernelILj192ELN6hipcub20BlockReduceAlgorithmE0EiEvPT1_S3_,comdat
.Lfunc_end38:
	.size	_Z13reduce_kernelILj192ELN6hipcub20BlockReduceAlgorithmE0EiEvPT1_S3_, .Lfunc_end38-_Z13reduce_kernelILj192ELN6hipcub20BlockReduceAlgorithmE0EiEvPT1_S3_
                                        ; -- End function
	.section	.AMDGPU.csdata,"",@progbits
; Kernel info:
; codeLenInByte = 416
; NumSgprs: 12
; NumVgprs: 6
; NumAgprs: 0
; TotalNumVgprs: 6
; ScratchSize: 0
; MemoryBound: 0
; FloatMode: 240
; IeeeMode: 1
; LDSByteSize: 12 bytes/workgroup (compile time only)
; SGPRBlocks: 1
; VGPRBlocks: 0
; NumSGPRsForWavesPerEU: 12
; NumVGPRsForWavesPerEU: 6
; AccumOffset: 8
; Occupancy: 8
; WaveLimiterHint : 0
; COMPUTE_PGM_RSRC2:SCRATCH_EN: 0
; COMPUTE_PGM_RSRC2:USER_SGPR: 6
; COMPUTE_PGM_RSRC2:TRAP_HANDLER: 0
; COMPUTE_PGM_RSRC2:TGID_X_EN: 1
; COMPUTE_PGM_RSRC2:TGID_Y_EN: 0
; COMPUTE_PGM_RSRC2:TGID_Z_EN: 0
; COMPUTE_PGM_RSRC2:TIDIG_COMP_CNT: 0
; COMPUTE_PGM_RSRC3_GFX90A:ACCUM_OFFSET: 1
; COMPUTE_PGM_RSRC3_GFX90A:TG_SPLIT: 0
	.section	.text._Z13reduce_kernelILj128ELN6hipcub20BlockReduceAlgorithmE0EiEvPT1_S3_,"axG",@progbits,_Z13reduce_kernelILj128ELN6hipcub20BlockReduceAlgorithmE0EiEvPT1_S3_,comdat
	.protected	_Z13reduce_kernelILj128ELN6hipcub20BlockReduceAlgorithmE0EiEvPT1_S3_ ; -- Begin function _Z13reduce_kernelILj128ELN6hipcub20BlockReduceAlgorithmE0EiEvPT1_S3_
	.globl	_Z13reduce_kernelILj128ELN6hipcub20BlockReduceAlgorithmE0EiEvPT1_S3_
	.p2align	8
	.type	_Z13reduce_kernelILj128ELN6hipcub20BlockReduceAlgorithmE0EiEvPT1_S3_,@function
_Z13reduce_kernelILj128ELN6hipcub20BlockReduceAlgorithmE0EiEvPT1_S3_: ; @_Z13reduce_kernelILj128ELN6hipcub20BlockReduceAlgorithmE0EiEvPT1_S3_
; %bb.0:
	s_load_dwordx4 s[0:3], s[4:5], 0x0
	v_lshl_or_b32 v2, s6, 7, v0
	v_mov_b32_e32 v3, 0
	v_lshlrev_b64 v[2:3], 2, v[2:3]
	s_waitcnt lgkmcnt(0)
	v_mov_b32_e32 v1, s1
	v_add_co_u32_e32 v2, vcc, s0, v2
	v_addc_co_u32_e32 v3, vcc, v1, v3, vcc
	global_load_dword v2, v[2:3], off
	v_mbcnt_lo_u32_b32 v1, -1, 0
	v_mbcnt_hi_u32_b32 v1, -1, v1
	v_lshlrev_b32_e32 v3, 2, v1
	v_cmp_eq_u32_e32 vcc, 0, v1
	s_waitcnt vmcnt(0)
	v_mov_b32_dpp v4, v2 quad_perm:[1,0,3,2] row_mask:0xf bank_mask:0xf
	v_add_u32_e32 v2, v4, v2
	s_nop 1
	v_mov_b32_dpp v4, v2 quad_perm:[2,3,0,1] row_mask:0xf bank_mask:0xf
	v_add_u32_e32 v2, v2, v4
	s_nop 1
	v_mov_b32_dpp v4, v2 row_ror:4 row_mask:0xf bank_mask:0xf
	v_add_u32_e32 v2, v2, v4
	s_nop 1
	v_mov_b32_dpp v4, v2 row_ror:8 row_mask:0xf bank_mask:0xf
	v_add_u32_e32 v2, v2, v4
	s_nop 1
	v_mov_b32_dpp v4, v2 row_bcast:15 row_mask:0xf bank_mask:0xf
	v_add_u32_e32 v2, v2, v4
	s_nop 1
	v_mov_b32_dpp v4, v2 row_bcast:31 row_mask:0xf bank_mask:0xf
	v_add_u32_e32 v2, v2, v4
	v_or_b32_e32 v4, 0xfc, v3
	ds_bpermute_b32 v2, v4, v2
	s_and_saveexec_b64 s[0:1], vcc
	s_cbranch_execz .LBB39_2
; %bb.1:
	v_lshrrev_b32_e32 v4, 4, v0
	v_and_b32_e32 v4, 4, v4
	s_waitcnt lgkmcnt(0)
	ds_write_b32 v4, v2
.LBB39_2:
	s_or_b64 exec, exec, s[0:1]
	v_cmp_gt_u32_e32 vcc, 64, v0
	s_waitcnt lgkmcnt(0)
	s_barrier
	s_and_saveexec_b64 s[0:1], vcc
	s_cbranch_execz .LBB39_4
; %bb.3:
	v_and_b32_e32 v1, 1, v1
	v_lshlrev_b32_e32 v1, 2, v1
	ds_read_b32 v1, v1
	v_or_b32_e32 v2, 4, v3
	s_waitcnt lgkmcnt(0)
	ds_bpermute_b32 v2, v2, v1
	s_waitcnt lgkmcnt(0)
	v_add_u32_e32 v2, v2, v1
.LBB39_4:
	s_or_b64 exec, exec, s[0:1]
	s_mov_b32 s7, 0
	v_cmp_eq_u32_e32 vcc, 0, v0
	s_and_saveexec_b64 s[0:1], vcc
	s_cbranch_execz .LBB39_6
; %bb.5:
	s_lshl_b64 s[0:1], s[6:7], 2
	s_add_u32 s0, s2, s0
	s_addc_u32 s1, s3, s1
	v_mov_b32_e32 v0, 0
	global_store_dword v0, v2, s[0:1]
.LBB39_6:
	s_endpgm
	.section	.rodata,"a",@progbits
	.p2align	6, 0x0
	.amdhsa_kernel _Z13reduce_kernelILj128ELN6hipcub20BlockReduceAlgorithmE0EiEvPT1_S3_
		.amdhsa_group_segment_fixed_size 8
		.amdhsa_private_segment_fixed_size 0
		.amdhsa_kernarg_size 16
		.amdhsa_user_sgpr_count 6
		.amdhsa_user_sgpr_private_segment_buffer 1
		.amdhsa_user_sgpr_dispatch_ptr 0
		.amdhsa_user_sgpr_queue_ptr 0
		.amdhsa_user_sgpr_kernarg_segment_ptr 1
		.amdhsa_user_sgpr_dispatch_id 0
		.amdhsa_user_sgpr_flat_scratch_init 0
		.amdhsa_user_sgpr_kernarg_preload_length 0
		.amdhsa_user_sgpr_kernarg_preload_offset 0
		.amdhsa_user_sgpr_private_segment_size 0
		.amdhsa_uses_dynamic_stack 0
		.amdhsa_system_sgpr_private_segment_wavefront_offset 0
		.amdhsa_system_sgpr_workgroup_id_x 1
		.amdhsa_system_sgpr_workgroup_id_y 0
		.amdhsa_system_sgpr_workgroup_id_z 0
		.amdhsa_system_sgpr_workgroup_info 0
		.amdhsa_system_vgpr_workitem_id 0
		.amdhsa_next_free_vgpr 5
		.amdhsa_next_free_sgpr 8
		.amdhsa_accum_offset 8
		.amdhsa_reserve_vcc 1
		.amdhsa_reserve_flat_scratch 0
		.amdhsa_float_round_mode_32 0
		.amdhsa_float_round_mode_16_64 0
		.amdhsa_float_denorm_mode_32 3
		.amdhsa_float_denorm_mode_16_64 3
		.amdhsa_dx10_clamp 1
		.amdhsa_ieee_mode 1
		.amdhsa_fp16_overflow 0
		.amdhsa_tg_split 0
		.amdhsa_exception_fp_ieee_invalid_op 0
		.amdhsa_exception_fp_denorm_src 0
		.amdhsa_exception_fp_ieee_div_zero 0
		.amdhsa_exception_fp_ieee_overflow 0
		.amdhsa_exception_fp_ieee_underflow 0
		.amdhsa_exception_fp_ieee_inexact 0
		.amdhsa_exception_int_div_zero 0
	.end_amdhsa_kernel
	.section	.text._Z13reduce_kernelILj128ELN6hipcub20BlockReduceAlgorithmE0EiEvPT1_S3_,"axG",@progbits,_Z13reduce_kernelILj128ELN6hipcub20BlockReduceAlgorithmE0EiEvPT1_S3_,comdat
.Lfunc_end39:
	.size	_Z13reduce_kernelILj128ELN6hipcub20BlockReduceAlgorithmE0EiEvPT1_S3_, .Lfunc_end39-_Z13reduce_kernelILj128ELN6hipcub20BlockReduceAlgorithmE0EiEvPT1_S3_
                                        ; -- End function
	.section	.AMDGPU.csdata,"",@progbits
; Kernel info:
; codeLenInByte = 328
; NumSgprs: 12
; NumVgprs: 5
; NumAgprs: 0
; TotalNumVgprs: 5
; ScratchSize: 0
; MemoryBound: 0
; FloatMode: 240
; IeeeMode: 1
; LDSByteSize: 8 bytes/workgroup (compile time only)
; SGPRBlocks: 1
; VGPRBlocks: 0
; NumSGPRsForWavesPerEU: 12
; NumVGPRsForWavesPerEU: 5
; AccumOffset: 8
; Occupancy: 8
; WaveLimiterHint : 0
; COMPUTE_PGM_RSRC2:SCRATCH_EN: 0
; COMPUTE_PGM_RSRC2:USER_SGPR: 6
; COMPUTE_PGM_RSRC2:TRAP_HANDLER: 0
; COMPUTE_PGM_RSRC2:TGID_X_EN: 1
; COMPUTE_PGM_RSRC2:TGID_Y_EN: 0
; COMPUTE_PGM_RSRC2:TGID_Z_EN: 0
; COMPUTE_PGM_RSRC2:TIDIG_COMP_CNT: 0
; COMPUTE_PGM_RSRC3_GFX90A:ACCUM_OFFSET: 1
; COMPUTE_PGM_RSRC3_GFX90A:TG_SPLIT: 0
	.section	.text._Z13reduce_kernelILj64ELN6hipcub20BlockReduceAlgorithmE0EiEvPT1_S3_,"axG",@progbits,_Z13reduce_kernelILj64ELN6hipcub20BlockReduceAlgorithmE0EiEvPT1_S3_,comdat
	.protected	_Z13reduce_kernelILj64ELN6hipcub20BlockReduceAlgorithmE0EiEvPT1_S3_ ; -- Begin function _Z13reduce_kernelILj64ELN6hipcub20BlockReduceAlgorithmE0EiEvPT1_S3_
	.globl	_Z13reduce_kernelILj64ELN6hipcub20BlockReduceAlgorithmE0EiEvPT1_S3_
	.p2align	8
	.type	_Z13reduce_kernelILj64ELN6hipcub20BlockReduceAlgorithmE0EiEvPT1_S3_,@function
_Z13reduce_kernelILj64ELN6hipcub20BlockReduceAlgorithmE0EiEvPT1_S3_: ; @_Z13reduce_kernelILj64ELN6hipcub20BlockReduceAlgorithmE0EiEvPT1_S3_
; %bb.0:
	s_load_dwordx4 s[0:3], s[4:5], 0x0
	v_lshl_or_b32 v2, s6, 6, v0
	v_mov_b32_e32 v3, 0
	v_lshlrev_b64 v[4:5], 2, v[2:3]
	v_mbcnt_lo_u32_b32 v2, -1, 0
	s_waitcnt lgkmcnt(0)
	v_mov_b32_e32 v1, s1
	v_add_co_u32_e32 v4, vcc, s0, v4
	v_addc_co_u32_e32 v5, vcc, v1, v5, vcc
	global_load_dword v1, v[4:5], off
	v_bfrev_b32_e32 v4, 0.5
	v_mbcnt_hi_u32_b32 v2, -1, v2
	v_lshl_or_b32 v2, v2, 2, v4
	s_mov_b32 s7, 0
	v_cmp_eq_u32_e32 vcc, 0, v0
	s_waitcnt vmcnt(0)
	v_mov_b32_dpp v5, v1 quad_perm:[1,0,3,2] row_mask:0xf bank_mask:0xf
	v_add_u32_e32 v1, v5, v1
	s_nop 1
	v_mov_b32_dpp v5, v1 quad_perm:[2,3,0,1] row_mask:0xf bank_mask:0xf
	v_add_u32_e32 v1, v1, v5
	s_nop 1
	v_mov_b32_dpp v5, v1 row_ror:4 row_mask:0xf bank_mask:0xf
	v_add_u32_e32 v1, v1, v5
	s_nop 1
	v_mov_b32_dpp v5, v1 row_ror:8 row_mask:0xf bank_mask:0xf
	v_add_u32_e32 v1, v1, v5
	s_nop 1
	v_mov_b32_dpp v5, v1 row_bcast:15 row_mask:0xf bank_mask:0xf
	v_add_u32_e32 v1, v1, v5
	s_nop 1
	v_mov_b32_dpp v5, v1 row_bcast:31 row_mask:0xf bank_mask:0xf
	v_add_u32_e32 v1, v1, v5
	ds_bpermute_b32 v1, v2, v1
	s_and_saveexec_b64 s[0:1], vcc
	s_cbranch_execz .LBB40_2
; %bb.1:
	s_lshl_b64 s[0:1], s[6:7], 2
	s_add_u32 s0, s2, s0
	s_addc_u32 s1, s3, s1
	s_waitcnt lgkmcnt(0)
	global_store_dword v3, v1, s[0:1]
.LBB40_2:
	s_endpgm
	.section	.rodata,"a",@progbits
	.p2align	6, 0x0
	.amdhsa_kernel _Z13reduce_kernelILj64ELN6hipcub20BlockReduceAlgorithmE0EiEvPT1_S3_
		.amdhsa_group_segment_fixed_size 0
		.amdhsa_private_segment_fixed_size 0
		.amdhsa_kernarg_size 16
		.amdhsa_user_sgpr_count 6
		.amdhsa_user_sgpr_private_segment_buffer 1
		.amdhsa_user_sgpr_dispatch_ptr 0
		.amdhsa_user_sgpr_queue_ptr 0
		.amdhsa_user_sgpr_kernarg_segment_ptr 1
		.amdhsa_user_sgpr_dispatch_id 0
		.amdhsa_user_sgpr_flat_scratch_init 0
		.amdhsa_user_sgpr_kernarg_preload_length 0
		.amdhsa_user_sgpr_kernarg_preload_offset 0
		.amdhsa_user_sgpr_private_segment_size 0
		.amdhsa_uses_dynamic_stack 0
		.amdhsa_system_sgpr_private_segment_wavefront_offset 0
		.amdhsa_system_sgpr_workgroup_id_x 1
		.amdhsa_system_sgpr_workgroup_id_y 0
		.amdhsa_system_sgpr_workgroup_id_z 0
		.amdhsa_system_sgpr_workgroup_info 0
		.amdhsa_system_vgpr_workitem_id 0
		.amdhsa_next_free_vgpr 6
		.amdhsa_next_free_sgpr 8
		.amdhsa_accum_offset 8
		.amdhsa_reserve_vcc 1
		.amdhsa_reserve_flat_scratch 0
		.amdhsa_float_round_mode_32 0
		.amdhsa_float_round_mode_16_64 0
		.amdhsa_float_denorm_mode_32 3
		.amdhsa_float_denorm_mode_16_64 3
		.amdhsa_dx10_clamp 1
		.amdhsa_ieee_mode 1
		.amdhsa_fp16_overflow 0
		.amdhsa_tg_split 0
		.amdhsa_exception_fp_ieee_invalid_op 0
		.amdhsa_exception_fp_denorm_src 0
		.amdhsa_exception_fp_ieee_div_zero 0
		.amdhsa_exception_fp_ieee_overflow 0
		.amdhsa_exception_fp_ieee_underflow 0
		.amdhsa_exception_fp_ieee_inexact 0
		.amdhsa_exception_int_div_zero 0
	.end_amdhsa_kernel
	.section	.text._Z13reduce_kernelILj64ELN6hipcub20BlockReduceAlgorithmE0EiEvPT1_S3_,"axG",@progbits,_Z13reduce_kernelILj64ELN6hipcub20BlockReduceAlgorithmE0EiEvPT1_S3_,comdat
.Lfunc_end40:
	.size	_Z13reduce_kernelILj64ELN6hipcub20BlockReduceAlgorithmE0EiEvPT1_S3_, .Lfunc_end40-_Z13reduce_kernelILj64ELN6hipcub20BlockReduceAlgorithmE0EiEvPT1_S3_
                                        ; -- End function
	.section	.AMDGPU.csdata,"",@progbits
; Kernel info:
; codeLenInByte = 228
; NumSgprs: 12
; NumVgprs: 6
; NumAgprs: 0
; TotalNumVgprs: 6
; ScratchSize: 0
; MemoryBound: 0
; FloatMode: 240
; IeeeMode: 1
; LDSByteSize: 0 bytes/workgroup (compile time only)
; SGPRBlocks: 1
; VGPRBlocks: 0
; NumSGPRsForWavesPerEU: 12
; NumVGPRsForWavesPerEU: 6
; AccumOffset: 8
; Occupancy: 8
; WaveLimiterHint : 0
; COMPUTE_PGM_RSRC2:SCRATCH_EN: 0
; COMPUTE_PGM_RSRC2:USER_SGPR: 6
; COMPUTE_PGM_RSRC2:TRAP_HANDLER: 0
; COMPUTE_PGM_RSRC2:TGID_X_EN: 1
; COMPUTE_PGM_RSRC2:TGID_Y_EN: 0
; COMPUTE_PGM_RSRC2:TGID_Z_EN: 0
; COMPUTE_PGM_RSRC2:TIDIG_COMP_CNT: 0
; COMPUTE_PGM_RSRC3_GFX90A:ACCUM_OFFSET: 1
; COMPUTE_PGM_RSRC3_GFX90A:TG_SPLIT: 0
	.section	.text._Z19reduce_valid_kernelILj377ELN6hipcub20BlockReduceAlgorithmE2EhEvPT1_S3_j,"axG",@progbits,_Z19reduce_valid_kernelILj377ELN6hipcub20BlockReduceAlgorithmE2EhEvPT1_S3_j,comdat
	.protected	_Z19reduce_valid_kernelILj377ELN6hipcub20BlockReduceAlgorithmE2EhEvPT1_S3_j ; -- Begin function _Z19reduce_valid_kernelILj377ELN6hipcub20BlockReduceAlgorithmE2EhEvPT1_S3_j
	.globl	_Z19reduce_valid_kernelILj377ELN6hipcub20BlockReduceAlgorithmE2EhEvPT1_S3_j
	.p2align	8
	.type	_Z19reduce_valid_kernelILj377ELN6hipcub20BlockReduceAlgorithmE2EhEvPT1_S3_j,@function
_Z19reduce_valid_kernelILj377ELN6hipcub20BlockReduceAlgorithmE2EhEvPT1_S3_j: ; @_Z19reduce_valid_kernelILj377ELN6hipcub20BlockReduceAlgorithmE2EhEvPT1_S3_j
; %bb.0:
	s_load_dwordx4 s[8:11], s[4:5], 0x0
	s_load_dword s7, s[4:5], 0x10
	s_mul_i32 s0, s6, 0x179
	v_add_u32_e32 v1, s0, v0
	v_cmp_lt_u32_e32 vcc, 63, v0
	s_waitcnt lgkmcnt(0)
	global_load_ubyte v1, v1, s[8:9]
	v_cmp_gt_u32_e64 s[0:1], s7, v0
	s_and_b64 s[2:3], vcc, s[0:1]
	s_and_saveexec_b64 s[0:1], s[2:3]
	s_cbranch_execz .LBB41_2
; %bb.1:
	s_waitcnt vmcnt(0)
	ds_write_b8 v0, v1
.LBB41_2:
	s_or_b64 exec, exec, s[0:1]
	v_cmp_gt_u32_e32 vcc, 64, v0
	s_waitcnt lgkmcnt(0)
	s_barrier
	s_and_saveexec_b64 s[8:9], vcc
	s_cbranch_execnz .LBB41_5
; %bb.3:
	s_or_b64 exec, exec, s[8:9]
	v_cmp_eq_u32_e32 vcc, 0, v0
	s_and_saveexec_b64 s[0:1], vcc
	s_cbranch_execnz .LBB41_18
.LBB41_4:
	s_endpgm
.LBB41_5:
	v_or_b32_e32 v2, 64, v0
	v_cmp_gt_u32_e32 vcc, s7, v2
	s_and_saveexec_b64 s[2:3], vcc
	s_cbranch_execz .LBB41_17
; %bb.6:
	v_sub_u32_e32 v3, s7, v0
	v_add_u32_e32 v3, 0xffffffbf, v3
	s_movk_i32 s0, 0x5c0
	v_cmp_gt_u32_e32 vcc, s0, v3
	s_movk_i32 s0, 0x5bf
	v_cmp_lt_u32_e64 s[0:1], s0, v3
	s_and_saveexec_b64 s[4:5], s[0:1]
	s_cbranch_execz .LBB41_12
; %bb.7:
	v_and_b32_e32 v4, 0xffffffc0, v3
	v_add_u32_e32 v4, v2, v4
	v_cmp_ge_i32_e64 s[0:1], v4, v2
	s_mov_b64 s[14:15], -1
	s_and_saveexec_b64 s[12:13], s[0:1]
	s_cbranch_execz .LBB41_11
; %bb.8:
	v_lshrrev_b32_e32 v3, 6, v3
	v_add_u32_e32 v12, 1, v3
	v_add_u32_e32 v9, 0x1c0, v2
	;; [unrolled: 1-line block ×7, first 2 shown]
	v_and_b32_e32 v13, 0x7fffff0, v12
	v_add_u32_e32 v3, 64, v2
	s_mov_b32 s0, 0xffff
	v_pk_mov_b32 v[10:11], v[8:9], v[8:9] op_sel:[0,1]
	s_waitcnt vmcnt(0)
	v_and_b32_sdwa v16, s0, v1 dst_sel:DWORD dst_unused:UNUSED_PAD src0_sel:DWORD src1_sel:BYTE_0
	v_mov_b32_e32 v17, 0
	s_mov_b64 s[14:15], 0
	v_mov_b32_e32 v15, 0
	v_mov_b32_e32 v1, 8
	;; [unrolled: 1-line block ×3, first 2 shown]
	v_pk_mov_b32 v[8:9], v[6:7], v[6:7] op_sel:[0,1]
	v_pk_mov_b32 v[6:7], v[4:5], v[4:5] op_sel:[0,1]
	;; [unrolled: 1-line block ×3, first 2 shown]
	v_mov_b32_e32 v3, 0
.LBB41_9:                               ; =>This Inner Loop Header: Depth=1
	ds_read_u8 v18, v4
	ds_read_u8 v19, v5
	;; [unrolled: 1-line block ×8, first 2 shown]
	ds_read_u8 v26, v4 offset:512
	ds_read_u8 v27, v5 offset:512
	;; [unrolled: 1-line block ×8, first 2 shown]
	s_waitcnt lgkmcnt(10)
	v_add_u16_sdwa v23, v23, v17 dst_sel:BYTE_1 dst_unused:UNUSED_PAD src0_sel:DWORD src1_sel:BYTE_1
	v_add_u16_e32 v22, v22, v17
	s_waitcnt lgkmcnt(8)
	v_add_u16_sdwa v25, v25, v17 dst_sel:BYTE_1 dst_unused:UNUSED_PAD src0_sel:DWORD src1_sel:BYTE_3
	v_add_u16_sdwa v17, v24, v17 dst_sel:DWORD dst_unused:UNUSED_PAD src0_sel:DWORD src1_sel:WORD_1
	v_add_u16_sdwa v19, v19, v16 dst_sel:BYTE_1 dst_unused:UNUSED_PAD src0_sel:DWORD src1_sel:BYTE_1
	v_add_u16_e32 v24, v18, v16
	v_add_u16_sdwa v34, v21, v16 dst_sel:BYTE_1 dst_unused:UNUSED_PAD src0_sel:DWORD src1_sel:BYTE_3
	v_add_u16_sdwa v16, v20, v16 dst_sel:DWORD dst_unused:UNUSED_PAD src0_sel:DWORD src1_sel:WORD_1
	s_waitcnt lgkmcnt(2)
	v_add_u16_sdwa v20, v31, v3 dst_sel:BYTE_1 dst_unused:UNUSED_PAD src0_sel:DWORD src1_sel:BYTE_1
	v_add_u16_e32 v21, v30, v3
	v_add_u16_sdwa v27, v27, v15 dst_sel:BYTE_1 dst_unused:UNUSED_PAD src0_sel:DWORD src1_sel:BYTE_1
	v_add_u16_e32 v26, v26, v15
	s_waitcnt lgkmcnt(0)
	v_add_u16_sdwa v30, v33, v3 dst_sel:BYTE_1 dst_unused:UNUSED_PAD src0_sel:DWORD src1_sel:BYTE_3
	v_add_u16_sdwa v3, v32, v3 dst_sel:DWORD dst_unused:UNUSED_PAD src0_sel:DWORD src1_sel:WORD_1
	v_add_u16_sdwa v29, v29, v15 dst_sel:BYTE_1 dst_unused:UNUSED_PAD src0_sel:DWORD src1_sel:BYTE_3
	v_add_u16_sdwa v15, v28, v15 dst_sel:DWORD dst_unused:UNUSED_PAD src0_sel:DWORD src1_sel:WORD_1
	v_or_b32_sdwa v18, v22, v23 dst_sel:DWORD dst_unused:UNUSED_PAD src0_sel:BYTE_0 src1_sel:DWORD
	v_or_b32_sdwa v22, v17, v25 dst_sel:DWORD dst_unused:UNUSED_PAD src0_sel:BYTE_0 src1_sel:DWORD
	;; [unrolled: 1-line block ×4, first 2 shown]
	v_lshrrev_b32_sdwa v16, v1, v25 dst_sel:BYTE_1 dst_unused:UNUSED_PAD src0_sel:DWORD src1_sel:DWORD
	v_or_b32_sdwa v20, v21, v20 dst_sel:DWORD dst_unused:UNUSED_PAD src0_sel:BYTE_0 src1_sel:DWORD
	v_or_b32_sdwa v21, v26, v27 dst_sel:DWORD dst_unused:UNUSED_PAD src0_sel:BYTE_0 src1_sel:DWORD
	v_add_u32_e32 v14, -16, v14
	v_or_b32_sdwa v24, v3, v30 dst_sel:DWORD dst_unused:UNUSED_PAD src0_sel:BYTE_0 src1_sel:DWORD
	v_or_b32_sdwa v25, v15, v29 dst_sel:DWORD dst_unused:UNUSED_PAD src0_sel:BYTE_0 src1_sel:DWORD
	v_lshrrev_b32_sdwa v3, v1, v30 dst_sel:BYTE_1 dst_unused:UNUSED_PAD src0_sel:DWORD src1_sel:DWORD
	v_lshrrev_b32_sdwa v15, v1, v34 dst_sel:BYTE_1 dst_unused:UNUSED_PAD src0_sel:DWORD src1_sel:DWORD
	;; [unrolled: 1-line block ×3, first 2 shown]
	v_lshrrev_b32_sdwa v26, v1, v18 dst_sel:BYTE_1 dst_unused:UNUSED_PAD src0_sel:DWORD src1_sel:WORD_0
	v_lshrrev_b32_sdwa v27, v1, v20 dst_sel:BYTE_1 dst_unused:UNUSED_PAD src0_sel:DWORD src1_sel:WORD_0
	v_lshrrev_b32_sdwa v28, v1, v19 dst_sel:BYTE_1 dst_unused:UNUSED_PAD src0_sel:DWORD src1_sel:WORD_0
	v_or_b32_sdwa v29, v22, v16 dst_sel:WORD_1 dst_unused:UNUSED_PAD src0_sel:BYTE_0 src1_sel:DWORD
	v_lshrrev_b32_sdwa v16, v1, v21 dst_sel:BYTE_1 dst_unused:UNUSED_PAD src0_sel:DWORD src1_sel:WORD_0
	v_cmp_eq_u32_e64 s[0:1], 0, v14
	v_or_b32_sdwa v15, v23, v15 dst_sel:WORD_1 dst_unused:UNUSED_PAD src0_sel:BYTE_0 src1_sel:DWORD
	v_or_b32_sdwa v30, v25, v17 dst_sel:WORD_1 dst_unused:UNUSED_PAD src0_sel:BYTE_0 src1_sel:DWORD
	;; [unrolled: 1-line block ×3, first 2 shown]
	v_or_b32_sdwa v17, v19, v28 dst_sel:DWORD dst_unused:UNUSED_PAD src0_sel:BYTE_0 src1_sel:DWORD
	v_or_b32_sdwa v26, v18, v26 dst_sel:DWORD dst_unused:UNUSED_PAD src0_sel:BYTE_0 src1_sel:DWORD
	;; [unrolled: 1-line block ×4, first 2 shown]
	v_add_u32_e32 v11, 0x400, v11
	v_add_u32_e32 v10, 0x400, v10
	v_add_u32_e32 v9, 0x400, v9
	v_add_u32_e32 v8, 0x400, v8
	v_add_u32_e32 v7, 0x400, v7
	v_add_u32_e32 v6, 0x400, v6
	v_add_u32_e32 v5, 0x400, v5
	v_add_u32_e32 v4, 0x400, v4
	s_or_b64 s[14:15], s[0:1], s[14:15]
	v_or_b32_sdwa v16, v17, v15 dst_sel:DWORD dst_unused:UNUSED_PAD src0_sel:WORD_0 src1_sel:DWORD
	v_or_b32_sdwa v17, v26, v29 dst_sel:DWORD dst_unused:UNUSED_PAD src0_sel:WORD_0 src1_sel:DWORD
	;; [unrolled: 1-line block ×4, first 2 shown]
	s_andn2_b64 exec, exec, s[14:15]
	s_cbranch_execnz .LBB41_9
; %bb.10:
	s_or_b64 exec, exec, s[14:15]
	v_lshlrev_b32_e32 v1, 16, v22
	v_lshlrev_b32_e32 v3, 16, v23
	;; [unrolled: 1-line block ×4, first 2 shown]
	v_or_b32_sdwa v1, v18, v1 dst_sel:DWORD dst_unused:UNUSED_PAD src0_sel:WORD_0 src1_sel:DWORD
	v_or_b32_sdwa v3, v19, v3 dst_sel:DWORD dst_unused:UNUSED_PAD src0_sel:WORD_0 src1_sel:DWORD
	;; [unrolled: 1-line block ×4, first 2 shown]
	v_add_u16_sdwa v6, v5, v3 dst_sel:DWORD dst_unused:UNUSED_PAD src0_sel:BYTE_1 src1_sel:BYTE_1
	v_add_u16_sdwa v7, v4, v1 dst_sel:DWORD dst_unused:UNUSED_PAD src0_sel:BYTE_1 src1_sel:BYTE_1
	v_add_u16_sdwa v8, v4, v1 dst_sel:DWORD dst_unused:UNUSED_PAD src0_sel:BYTE_3 src1_sel:BYTE_3
	v_add_u16_sdwa v9, v5, v3 dst_sel:DWORD dst_unused:UNUSED_PAD src0_sel:BYTE_3 src1_sel:BYTE_3
	v_add_u16_sdwa v10, v4, v1 dst_sel:DWORD dst_unused:UNUSED_PAD src0_sel:WORD_1 src1_sel:WORD_1
	v_add_u16_sdwa v11, v5, v3 dst_sel:DWORD dst_unused:UNUSED_PAD src0_sel:WORD_1 src1_sel:WORD_1
	v_add_u16_e32 v3, v5, v3
	v_add_u16_e32 v1, v4, v1
	v_add_u16_e32 v4, v11, v10
	v_add_u16_e32 v5, v9, v8
	v_add_u16_e32 v6, v6, v7
	v_add_u16_e32 v1, v3, v1
	v_add_u16_sdwa v3, v6, v5 dst_sel:BYTE_1 dst_unused:UNUSED_PAD src0_sel:DWORD src1_sel:DWORD
	v_add_u16_e32 v1, v1, v4
	v_or_b32_sdwa v1, v1, v3 dst_sel:DWORD dst_unused:UNUSED_PAD src0_sel:BYTE_0 src1_sel:DWORD
	v_lshrrev_b32_e32 v3, 8, v3
	v_cmp_ne_u32_e64 s[0:1], v12, v13
	v_lshl_or_b32 v2, v13, 6, v2
	v_add_u16_e32 v1, v1, v3
	s_orn2_b64 s[14:15], s[0:1], exec
.LBB41_11:
	s_or_b64 exec, exec, s[12:13]
	s_andn2_b64 s[0:1], vcc, exec
	s_and_b64 s[12:13], s[14:15], exec
	s_or_b64 vcc, s[0:1], s[12:13]
.LBB41_12:
	s_or_b64 exec, exec, s[4:5]
	s_and_saveexec_b64 s[0:1], vcc
	s_cbranch_execz .LBB41_16
; %bb.13:
	s_mov_b64 s[4:5], 0
.LBB41_14:                              ; =>This Inner Loop Header: Depth=1
	ds_read_u8 v3, v2
	v_add_u32_e32 v2, 64, v2
	v_cmp_le_u32_e32 vcc, s7, v2
	s_or_b64 s[4:5], vcc, s[4:5]
	s_waitcnt vmcnt(0) lgkmcnt(0)
	v_add_u16_e32 v1, v3, v1
	s_andn2_b64 exec, exec, s[4:5]
	s_cbranch_execnz .LBB41_14
; %bb.15:
	s_or_b64 exec, exec, s[4:5]
.LBB41_16:
	s_or_b64 exec, exec, s[0:1]
.LBB41_17:
	s_or_b64 exec, exec, s[2:3]
	v_mbcnt_lo_u32_b32 v2, -1, 0
	v_mbcnt_hi_u32_b32 v2, -1, v2
	v_and_b32_e32 v3, 63, v2
	v_cmp_ne_u32_e32 vcc, 63, v3
	v_addc_co_u32_e32 v5, vcc, 0, v2, vcc
	s_waitcnt vmcnt(0)
	v_and_b32_e32 v4, 0xff, v1
	v_lshlrev_b32_e32 v5, 2, v5
	ds_bpermute_b32 v5, v5, v4
	v_add_u32_e32 v6, 1, v2
	v_cmp_gt_u32_e64 s[0:1], 62, v3
	v_cmp_gt_u32_e32 vcc, s7, v6
	v_cndmask_b32_e64 v6, 0, 1, s[0:1]
	s_waitcnt lgkmcnt(0)
	v_add_u16_e32 v5, v1, v5
	v_and_b32_e32 v7, 0xff, v5
	v_lshlrev_b32_e32 v6, 1, v6
	v_cndmask_b32_e32 v4, v4, v7, vcc
	v_add_lshl_u32 v6, v6, v2, 2
	ds_bpermute_b32 v6, v6, v4
	v_cndmask_b32_e32 v5, v1, v5, vcc
	v_add_u32_e32 v7, 2, v2
	v_cmp_gt_u32_e64 s[2:3], 60, v3
	v_cmp_gt_u32_e64 s[0:1], s7, v7
	s_waitcnt lgkmcnt(0)
	v_add_u16_e32 v6, v5, v6
	v_cndmask_b32_e64 v7, 0, 1, s[2:3]
	v_and_b32_e32 v8, 0xff, v6
	v_lshlrev_b32_e32 v7, 2, v7
	v_cndmask_b32_e64 v4, v4, v8, s[0:1]
	v_add_lshl_u32 v7, v7, v2, 2
	ds_bpermute_b32 v7, v7, v4
	v_cndmask_b32_e64 v5, v5, v6, s[0:1]
	v_add_u32_e32 v6, 4, v2
	v_cmp_gt_u32_e64 s[4:5], 56, v3
	v_cmp_gt_u32_e64 s[2:3], s7, v6
	s_waitcnt lgkmcnt(0)
	v_add_u16_e32 v7, v5, v7
	v_cndmask_b32_e64 v6, 0, 1, s[4:5]
	v_and_b32_e32 v8, 0xff, v7
	v_lshlrev_b32_e32 v6, 3, v6
	v_cndmask_b32_e64 v4, v4, v8, s[2:3]
	v_add_lshl_u32 v6, v6, v2, 2
	ds_bpermute_b32 v6, v6, v4
	s_or_b64 s[4:5], vcc, s[0:1]
	v_cndmask_b32_e64 v5, v5, v7, s[2:3]
	v_add_u32_e32 v7, 8, v2
	v_cmp_gt_u32_e64 s[0:1], 48, v3
	s_waitcnt lgkmcnt(0)
	v_add_u16_e32 v6, v5, v6
	v_cmp_gt_u32_e32 vcc, s7, v7
	v_cndmask_b32_e64 v7, 0, 1, s[0:1]
	v_and_b32_e32 v8, 0xff, v6
	v_lshlrev_b32_e32 v7, 4, v7
	v_cndmask_b32_e32 v4, v4, v8, vcc
	v_add_lshl_u32 v7, v7, v2, 2
	ds_bpermute_b32 v7, v7, v4
	s_or_b64 s[0:1], s[2:3], s[4:5]
	v_cndmask_b32_e32 v5, v5, v6, vcc
	s_or_b64 s[2:3], vcc, s[0:1]
	v_cmp_gt_u32_e64 s[0:1], 32, v3
	v_add_u32_e32 v6, 16, v2
	s_waitcnt lgkmcnt(0)
	v_add_u16_e32 v7, v5, v7
	v_cndmask_b32_e64 v3, 0, 1, s[0:1]
	v_and_b32_e32 v8, 0xff, v7
	v_cmp_gt_u32_e32 vcc, s7, v6
	v_lshlrev_b32_e32 v3, 5, v3
	v_cndmask_b32_e32 v4, v4, v8, vcc
	v_add_lshl_u32 v3, v3, v2, 2
	ds_bpermute_b32 v3, v3, v4
	v_add_u32_e32 v2, 32, v2
	s_or_b64 s[0:1], vcc, s[2:3]
	v_cndmask_b32_e32 v4, v5, v7, vcc
	v_cmp_gt_u32_e32 vcc, s7, v2
	s_waitcnt lgkmcnt(0)
	v_cndmask_b32_e32 v2, 0, v3, vcc
	v_add_u16_e32 v2, v4, v2
	s_or_b64 vcc, vcc, s[0:1]
	v_cndmask_b32_e32 v1, v1, v2, vcc
	s_or_b64 exec, exec, s[8:9]
	v_cmp_eq_u32_e32 vcc, 0, v0
	s_and_saveexec_b64 s[0:1], vcc
	s_cbranch_execz .LBB41_4
.LBB41_18:
	v_mov_b32_e32 v0, s6
	s_waitcnt vmcnt(0)
	global_store_byte v0, v1, s[10:11]
	s_endpgm
	.section	.rodata,"a",@progbits
	.p2align	6, 0x0
	.amdhsa_kernel _Z19reduce_valid_kernelILj377ELN6hipcub20BlockReduceAlgorithmE2EhEvPT1_S3_j
		.amdhsa_group_segment_fixed_size 377
		.amdhsa_private_segment_fixed_size 0
		.amdhsa_kernarg_size 20
		.amdhsa_user_sgpr_count 6
		.amdhsa_user_sgpr_private_segment_buffer 1
		.amdhsa_user_sgpr_dispatch_ptr 0
		.amdhsa_user_sgpr_queue_ptr 0
		.amdhsa_user_sgpr_kernarg_segment_ptr 1
		.amdhsa_user_sgpr_dispatch_id 0
		.amdhsa_user_sgpr_flat_scratch_init 0
		.amdhsa_user_sgpr_kernarg_preload_length 0
		.amdhsa_user_sgpr_kernarg_preload_offset 0
		.amdhsa_user_sgpr_private_segment_size 0
		.amdhsa_uses_dynamic_stack 0
		.amdhsa_system_sgpr_private_segment_wavefront_offset 0
		.amdhsa_system_sgpr_workgroup_id_x 1
		.amdhsa_system_sgpr_workgroup_id_y 0
		.amdhsa_system_sgpr_workgroup_id_z 0
		.amdhsa_system_sgpr_workgroup_info 0
		.amdhsa_system_vgpr_workitem_id 0
		.amdhsa_next_free_vgpr 35
		.amdhsa_next_free_sgpr 16
		.amdhsa_accum_offset 36
		.amdhsa_reserve_vcc 1
		.amdhsa_reserve_flat_scratch 0
		.amdhsa_float_round_mode_32 0
		.amdhsa_float_round_mode_16_64 0
		.amdhsa_float_denorm_mode_32 3
		.amdhsa_float_denorm_mode_16_64 3
		.amdhsa_dx10_clamp 1
		.amdhsa_ieee_mode 1
		.amdhsa_fp16_overflow 0
		.amdhsa_tg_split 0
		.amdhsa_exception_fp_ieee_invalid_op 0
		.amdhsa_exception_fp_denorm_src 0
		.amdhsa_exception_fp_ieee_div_zero 0
		.amdhsa_exception_fp_ieee_overflow 0
		.amdhsa_exception_fp_ieee_underflow 0
		.amdhsa_exception_fp_ieee_inexact 0
		.amdhsa_exception_int_div_zero 0
	.end_amdhsa_kernel
	.section	.text._Z19reduce_valid_kernelILj377ELN6hipcub20BlockReduceAlgorithmE2EhEvPT1_S3_j,"axG",@progbits,_Z19reduce_valid_kernelILj377ELN6hipcub20BlockReduceAlgorithmE2EhEvPT1_S3_j,comdat
.Lfunc_end41:
	.size	_Z19reduce_valid_kernelILj377ELN6hipcub20BlockReduceAlgorithmE2EhEvPT1_S3_j, .Lfunc_end41-_Z19reduce_valid_kernelILj377ELN6hipcub20BlockReduceAlgorithmE2EhEvPT1_S3_j
                                        ; -- End function
	.section	.AMDGPU.csdata,"",@progbits
; Kernel info:
; codeLenInByte = 1668
; NumSgprs: 20
; NumVgprs: 35
; NumAgprs: 0
; TotalNumVgprs: 35
; ScratchSize: 0
; MemoryBound: 0
; FloatMode: 240
; IeeeMode: 1
; LDSByteSize: 377 bytes/workgroup (compile time only)
; SGPRBlocks: 2
; VGPRBlocks: 4
; NumSGPRsForWavesPerEU: 20
; NumVGPRsForWavesPerEU: 35
; AccumOffset: 36
; Occupancy: 8
; WaveLimiterHint : 0
; COMPUTE_PGM_RSRC2:SCRATCH_EN: 0
; COMPUTE_PGM_RSRC2:USER_SGPR: 6
; COMPUTE_PGM_RSRC2:TRAP_HANDLER: 0
; COMPUTE_PGM_RSRC2:TGID_X_EN: 1
; COMPUTE_PGM_RSRC2:TGID_Y_EN: 0
; COMPUTE_PGM_RSRC2:TGID_Z_EN: 0
; COMPUTE_PGM_RSRC2:TIDIG_COMP_CNT: 0
; COMPUTE_PGM_RSRC3_GFX90A:ACCUM_OFFSET: 8
; COMPUTE_PGM_RSRC3_GFX90A:TG_SPLIT: 0
	.section	.text._Z19reduce_valid_kernelILj377ELN6hipcub20BlockReduceAlgorithmE2EiEvPT1_S3_j,"axG",@progbits,_Z19reduce_valid_kernelILj377ELN6hipcub20BlockReduceAlgorithmE2EiEvPT1_S3_j,comdat
	.protected	_Z19reduce_valid_kernelILj377ELN6hipcub20BlockReduceAlgorithmE2EiEvPT1_S3_j ; -- Begin function _Z19reduce_valid_kernelILj377ELN6hipcub20BlockReduceAlgorithmE2EiEvPT1_S3_j
	.globl	_Z19reduce_valid_kernelILj377ELN6hipcub20BlockReduceAlgorithmE2EiEvPT1_S3_j
	.p2align	8
	.type	_Z19reduce_valid_kernelILj377ELN6hipcub20BlockReduceAlgorithmE2EiEvPT1_S3_j,@function
_Z19reduce_valid_kernelILj377ELN6hipcub20BlockReduceAlgorithmE2EiEvPT1_S3_j: ; @_Z19reduce_valid_kernelILj377ELN6hipcub20BlockReduceAlgorithmE2EiEvPT1_S3_j
; %bb.0:
	s_load_dwordx4 s[0:3], s[4:5], 0x0
	s_load_dword s7, s[4:5], 0x10
	s_mul_i32 s4, s6, 0x179
	v_add_u32_e32 v2, s4, v0
	v_mov_b32_e32 v3, 0
	v_lshlrev_b64 v[2:3], 2, v[2:3]
	s_waitcnt lgkmcnt(0)
	v_mov_b32_e32 v1, s1
	v_add_co_u32_e32 v2, vcc, s0, v2
	v_addc_co_u32_e32 v3, vcc, v1, v3, vcc
	global_load_dword v1, v[2:3], off
	v_cmp_lt_u32_e32 vcc, 63, v0
	v_cmp_gt_u32_e64 s[0:1], s7, v0
	s_and_b64 s[4:5], vcc, s[0:1]
	s_and_saveexec_b64 s[0:1], s[4:5]
	s_cbranch_execz .LBB42_2
; %bb.1:
	v_lshlrev_b32_e32 v2, 2, v0
	s_waitcnt vmcnt(0)
	ds_write_b32 v2, v1
.LBB42_2:
	s_or_b64 exec, exec, s[0:1]
	v_cmp_gt_u32_e32 vcc, 64, v0
	s_waitcnt lgkmcnt(0)
	s_barrier
	s_and_saveexec_b64 s[4:5], vcc
	s_cbranch_execz .LBB42_16
; %bb.3:
	v_or_b32_e32 v2, 64, v0
	v_cmp_gt_u32_e32 vcc, s7, v2
	s_and_saveexec_b64 s[8:9], vcc
	s_cbranch_execz .LBB42_15
; %bb.4:
	v_sub_u32_e32 v3, s7, v0
	v_add_u32_e32 v3, 0xffffffbf, v3
	s_movk_i32 s0, 0x4c0
	v_cmp_gt_u32_e32 vcc, s0, v3
	s_movk_i32 s0, 0x4bf
	v_cmp_lt_u32_e64 s[0:1], s0, v3
	s_and_saveexec_b64 s[10:11], s[0:1]
	s_cbranch_execz .LBB42_10
; %bb.5:
	v_and_b32_e32 v4, 0xffffffc0, v3
	v_add_u32_e32 v4, v2, v4
	v_cmp_ge_i32_e64 s[0:1], v4, v2
	s_mov_b64 s[14:15], -1
	s_and_saveexec_b64 s[12:13], s[0:1]
	s_cbranch_execz .LBB42_9
; %bb.6:
	v_lshrrev_b32_e32 v3, 6, v3
	v_add_u32_e32 v6, 1, v3
	v_and_b32_e32 v7, 0x7fffffe, v6
	v_add_u32_e32 v3, 64, v2
	s_mov_b64 s[14:15], 0
	v_mov_b32_e32 v8, 0
	v_mov_b32_e32 v9, v7
	v_pk_mov_b32 v[4:5], v[2:3], v[2:3] op_sel:[0,1]
.LBB42_7:                               ; =>This Inner Loop Header: Depth=1
	v_lshlrev_b32_e32 v3, 2, v4
	v_lshlrev_b32_e32 v10, 2, v5
	ds_read_b32 v10, v10
	ds_read_b32 v3, v3
	v_add_u32_e32 v9, -2, v9
	v_cmp_eq_u32_e64 s[0:1], 0, v9
	v_add_u32_e32 v5, 0x80, v5
	v_add_u32_e32 v4, 0x80, v4
	s_or_b64 s[14:15], s[0:1], s[14:15]
	s_waitcnt lgkmcnt(1)
	v_add_u32_e32 v8, v10, v8
	s_waitcnt vmcnt(0) lgkmcnt(0)
	v_add_u32_e32 v1, v3, v1
	s_andn2_b64 exec, exec, s[14:15]
	s_cbranch_execnz .LBB42_7
; %bb.8:
	s_or_b64 exec, exec, s[14:15]
	v_cmp_ne_u32_e64 s[0:1], v6, v7
	v_lshl_or_b32 v2, v7, 6, v2
	v_add_u32_e32 v1, v1, v8
	s_orn2_b64 s[14:15], s[0:1], exec
.LBB42_9:
	s_or_b64 exec, exec, s[12:13]
	s_andn2_b64 s[0:1], vcc, exec
	s_and_b64 s[12:13], s[14:15], exec
	s_or_b64 vcc, s[0:1], s[12:13]
.LBB42_10:
	s_or_b64 exec, exec, s[10:11]
	s_and_saveexec_b64 s[0:1], vcc
	s_cbranch_execz .LBB42_14
; %bb.11:
	v_lshlrev_b32_e32 v3, 2, v2
	s_mov_b64 s[10:11], 0
.LBB42_12:                              ; =>This Inner Loop Header: Depth=1
	ds_read_b32 v4, v3
	v_add_u32_e32 v2, 64, v2
	v_cmp_le_u32_e32 vcc, s7, v2
	v_add_u32_e32 v3, 0x100, v3
	s_or_b64 s[10:11], vcc, s[10:11]
	s_waitcnt vmcnt(0) lgkmcnt(0)
	v_add_u32_e32 v1, v4, v1
	s_andn2_b64 exec, exec, s[10:11]
	s_cbranch_execnz .LBB42_12
; %bb.13:
	s_or_b64 exec, exec, s[10:11]
.LBB42_14:
	s_or_b64 exec, exec, s[0:1]
.LBB42_15:
	s_or_b64 exec, exec, s[8:9]
	v_mbcnt_lo_u32_b32 v2, -1, 0
	v_mbcnt_hi_u32_b32 v2, -1, v2
	v_and_b32_e32 v3, 63, v2
	v_cmp_ne_u32_e32 vcc, 63, v3
	v_addc_co_u32_e32 v4, vcc, 0, v2, vcc
	v_lshlrev_b32_e32 v4, 2, v4
	s_waitcnt vmcnt(0)
	ds_bpermute_b32 v4, v4, v1
	v_add_u32_e32 v5, 1, v2
	v_cmp_gt_u32_e32 vcc, s7, v5
	v_add_u32_e32 v5, 2, v2
	s_waitcnt lgkmcnt(0)
	v_cndmask_b32_e32 v4, 0, v4, vcc
	v_cmp_gt_u32_e32 vcc, 62, v3
	v_add_u32_e32 v1, v4, v1
	v_cndmask_b32_e64 v4, 0, 1, vcc
	v_lshlrev_b32_e32 v4, 1, v4
	v_add_lshl_u32 v4, v4, v2, 2
	ds_bpermute_b32 v4, v4, v1
	v_cmp_gt_u32_e32 vcc, s7, v5
	v_add_u32_e32 v5, 4, v2
	s_waitcnt lgkmcnt(0)
	v_cndmask_b32_e32 v4, 0, v4, vcc
	v_cmp_gt_u32_e32 vcc, 60, v3
	v_add_u32_e32 v1, v1, v4
	v_cndmask_b32_e64 v4, 0, 1, vcc
	v_lshlrev_b32_e32 v4, 2, v4
	v_add_lshl_u32 v4, v4, v2, 2
	ds_bpermute_b32 v4, v4, v1
	;; [unrolled: 10-line block ×4, first 2 shown]
	v_cmp_gt_u32_e32 vcc, s7, v5
	s_waitcnt lgkmcnt(0)
	v_cndmask_b32_e32 v4, 0, v4, vcc
	v_cmp_gt_u32_e32 vcc, 32, v3
	v_cndmask_b32_e64 v3, 0, 1, vcc
	v_lshlrev_b32_e32 v3, 5, v3
	v_add_u32_e32 v1, v1, v4
	v_add_lshl_u32 v3, v3, v2, 2
	ds_bpermute_b32 v3, v3, v1
	v_add_u32_e32 v2, 32, v2
	v_cmp_gt_u32_e32 vcc, s7, v2
	s_waitcnt lgkmcnt(0)
	v_cndmask_b32_e32 v2, 0, v3, vcc
	v_add_u32_e32 v1, v1, v2
.LBB42_16:
	s_or_b64 exec, exec, s[4:5]
	s_mov_b32 s7, 0
	v_cmp_eq_u32_e32 vcc, 0, v0
	s_and_saveexec_b64 s[0:1], vcc
	s_cbranch_execz .LBB42_18
; %bb.17:
	s_lshl_b64 s[0:1], s[6:7], 2
	s_add_u32 s0, s2, s0
	s_addc_u32 s1, s3, s1
	v_mov_b32_e32 v0, 0
	s_waitcnt vmcnt(0)
	global_store_dword v0, v1, s[0:1]
.LBB42_18:
	s_endpgm
	.section	.rodata,"a",@progbits
	.p2align	6, 0x0
	.amdhsa_kernel _Z19reduce_valid_kernelILj377ELN6hipcub20BlockReduceAlgorithmE2EiEvPT1_S3_j
		.amdhsa_group_segment_fixed_size 1508
		.amdhsa_private_segment_fixed_size 0
		.amdhsa_kernarg_size 20
		.amdhsa_user_sgpr_count 6
		.amdhsa_user_sgpr_private_segment_buffer 1
		.amdhsa_user_sgpr_dispatch_ptr 0
		.amdhsa_user_sgpr_queue_ptr 0
		.amdhsa_user_sgpr_kernarg_segment_ptr 1
		.amdhsa_user_sgpr_dispatch_id 0
		.amdhsa_user_sgpr_flat_scratch_init 0
		.amdhsa_user_sgpr_kernarg_preload_length 0
		.amdhsa_user_sgpr_kernarg_preload_offset 0
		.amdhsa_user_sgpr_private_segment_size 0
		.amdhsa_uses_dynamic_stack 0
		.amdhsa_system_sgpr_private_segment_wavefront_offset 0
		.amdhsa_system_sgpr_workgroup_id_x 1
		.amdhsa_system_sgpr_workgroup_id_y 0
		.amdhsa_system_sgpr_workgroup_id_z 0
		.amdhsa_system_sgpr_workgroup_info 0
		.amdhsa_system_vgpr_workitem_id 0
		.amdhsa_next_free_vgpr 11
		.amdhsa_next_free_sgpr 16
		.amdhsa_accum_offset 12
		.amdhsa_reserve_vcc 1
		.amdhsa_reserve_flat_scratch 0
		.amdhsa_float_round_mode_32 0
		.amdhsa_float_round_mode_16_64 0
		.amdhsa_float_denorm_mode_32 3
		.amdhsa_float_denorm_mode_16_64 3
		.amdhsa_dx10_clamp 1
		.amdhsa_ieee_mode 1
		.amdhsa_fp16_overflow 0
		.amdhsa_tg_split 0
		.amdhsa_exception_fp_ieee_invalid_op 0
		.amdhsa_exception_fp_denorm_src 0
		.amdhsa_exception_fp_ieee_div_zero 0
		.amdhsa_exception_fp_ieee_overflow 0
		.amdhsa_exception_fp_ieee_underflow 0
		.amdhsa_exception_fp_ieee_inexact 0
		.amdhsa_exception_int_div_zero 0
	.end_amdhsa_kernel
	.section	.text._Z19reduce_valid_kernelILj377ELN6hipcub20BlockReduceAlgorithmE2EiEvPT1_S3_j,"axG",@progbits,_Z19reduce_valid_kernelILj377ELN6hipcub20BlockReduceAlgorithmE2EiEvPT1_S3_j,comdat
.Lfunc_end42:
	.size	_Z19reduce_valid_kernelILj377ELN6hipcub20BlockReduceAlgorithmE2EiEvPT1_S3_j, .Lfunc_end42-_Z19reduce_valid_kernelILj377ELN6hipcub20BlockReduceAlgorithmE2EiEvPT1_S3_j
                                        ; -- End function
	.section	.AMDGPU.csdata,"",@progbits
; Kernel info:
; codeLenInByte = 832
; NumSgprs: 20
; NumVgprs: 11
; NumAgprs: 0
; TotalNumVgprs: 11
; ScratchSize: 0
; MemoryBound: 0
; FloatMode: 240
; IeeeMode: 1
; LDSByteSize: 1508 bytes/workgroup (compile time only)
; SGPRBlocks: 2
; VGPRBlocks: 1
; NumSGPRsForWavesPerEU: 20
; NumVGPRsForWavesPerEU: 11
; AccumOffset: 12
; Occupancy: 8
; WaveLimiterHint : 0
; COMPUTE_PGM_RSRC2:SCRATCH_EN: 0
; COMPUTE_PGM_RSRC2:USER_SGPR: 6
; COMPUTE_PGM_RSRC2:TRAP_HANDLER: 0
; COMPUTE_PGM_RSRC2:TGID_X_EN: 1
; COMPUTE_PGM_RSRC2:TGID_Y_EN: 0
; COMPUTE_PGM_RSRC2:TGID_Z_EN: 0
; COMPUTE_PGM_RSRC2:TIDIG_COMP_CNT: 0
; COMPUTE_PGM_RSRC3_GFX90A:ACCUM_OFFSET: 2
; COMPUTE_PGM_RSRC3_GFX90A:TG_SPLIT: 0
	.section	.text._Z19reduce_valid_kernelILj255ELN6hipcub20BlockReduceAlgorithmE2EjEvPT1_S3_j,"axG",@progbits,_Z19reduce_valid_kernelILj255ELN6hipcub20BlockReduceAlgorithmE2EjEvPT1_S3_j,comdat
	.protected	_Z19reduce_valid_kernelILj255ELN6hipcub20BlockReduceAlgorithmE2EjEvPT1_S3_j ; -- Begin function _Z19reduce_valid_kernelILj255ELN6hipcub20BlockReduceAlgorithmE2EjEvPT1_S3_j
	.globl	_Z19reduce_valid_kernelILj255ELN6hipcub20BlockReduceAlgorithmE2EjEvPT1_S3_j
	.p2align	8
	.type	_Z19reduce_valid_kernelILj255ELN6hipcub20BlockReduceAlgorithmE2EjEvPT1_S3_j,@function
_Z19reduce_valid_kernelILj255ELN6hipcub20BlockReduceAlgorithmE2EjEvPT1_S3_j: ; @_Z19reduce_valid_kernelILj255ELN6hipcub20BlockReduceAlgorithmE2EjEvPT1_S3_j
; %bb.0:
	s_load_dwordx4 s[0:3], s[4:5], 0x0
	s_load_dword s7, s[4:5], 0x10
	s_mul_i32 s4, s6, 0xff
	v_add_u32_e32 v2, s4, v0
	v_mov_b32_e32 v3, 0
	v_lshlrev_b64 v[2:3], 2, v[2:3]
	s_waitcnt lgkmcnt(0)
	v_mov_b32_e32 v1, s1
	v_add_co_u32_e32 v2, vcc, s0, v2
	v_addc_co_u32_e32 v3, vcc, v1, v3, vcc
	global_load_dword v1, v[2:3], off
	v_cmp_lt_u32_e32 vcc, 63, v0
	v_cmp_gt_u32_e64 s[0:1], s7, v0
	s_and_b64 s[4:5], vcc, s[0:1]
	s_and_saveexec_b64 s[0:1], s[4:5]
	s_cbranch_execz .LBB43_2
; %bb.1:
	v_lshlrev_b32_e32 v2, 2, v0
	s_waitcnt vmcnt(0)
	ds_write_b32 v2, v1
.LBB43_2:
	s_or_b64 exec, exec, s[0:1]
	v_cmp_gt_u32_e32 vcc, 64, v0
	s_waitcnt lgkmcnt(0)
	s_barrier
	s_and_saveexec_b64 s[4:5], vcc
	s_cbranch_execz .LBB43_16
; %bb.3:
	v_or_b32_e32 v2, 64, v0
	v_cmp_gt_u32_e32 vcc, s7, v2
	s_and_saveexec_b64 s[8:9], vcc
	s_cbranch_execz .LBB43_15
; %bb.4:
	v_sub_u32_e32 v3, s7, v0
	v_add_u32_e32 v3, 0xffffffbf, v3
	s_movk_i32 s0, 0x4c0
	v_cmp_gt_u32_e32 vcc, s0, v3
	s_movk_i32 s0, 0x4bf
	v_cmp_lt_u32_e64 s[0:1], s0, v3
	s_and_saveexec_b64 s[10:11], s[0:1]
	s_cbranch_execz .LBB43_10
; %bb.5:
	v_and_b32_e32 v4, 0xffffffc0, v3
	v_add_u32_e32 v4, v2, v4
	v_cmp_ge_i32_e64 s[0:1], v4, v2
	s_mov_b64 s[14:15], -1
	s_and_saveexec_b64 s[12:13], s[0:1]
	s_cbranch_execz .LBB43_9
; %bb.6:
	v_lshrrev_b32_e32 v3, 6, v3
	v_add_u32_e32 v6, 1, v3
	v_and_b32_e32 v7, 0x7fffffe, v6
	v_add_u32_e32 v3, 64, v2
	s_mov_b64 s[14:15], 0
	v_mov_b32_e32 v8, 0
	v_mov_b32_e32 v9, v7
	v_pk_mov_b32 v[4:5], v[2:3], v[2:3] op_sel:[0,1]
.LBB43_7:                               ; =>This Inner Loop Header: Depth=1
	v_lshlrev_b32_e32 v3, 2, v4
	v_lshlrev_b32_e32 v10, 2, v5
	ds_read_b32 v10, v10
	ds_read_b32 v3, v3
	v_add_u32_e32 v9, -2, v9
	v_cmp_eq_u32_e64 s[0:1], 0, v9
	v_add_u32_e32 v5, 0x80, v5
	v_add_u32_e32 v4, 0x80, v4
	s_or_b64 s[14:15], s[0:1], s[14:15]
	s_waitcnt lgkmcnt(1)
	v_add_u32_e32 v8, v10, v8
	s_waitcnt vmcnt(0) lgkmcnt(0)
	v_add_u32_e32 v1, v3, v1
	s_andn2_b64 exec, exec, s[14:15]
	s_cbranch_execnz .LBB43_7
; %bb.8:
	s_or_b64 exec, exec, s[14:15]
	v_cmp_ne_u32_e64 s[0:1], v6, v7
	v_lshl_or_b32 v2, v7, 6, v2
	v_add_u32_e32 v1, v1, v8
	s_orn2_b64 s[14:15], s[0:1], exec
.LBB43_9:
	s_or_b64 exec, exec, s[12:13]
	s_andn2_b64 s[0:1], vcc, exec
	s_and_b64 s[12:13], s[14:15], exec
	s_or_b64 vcc, s[0:1], s[12:13]
.LBB43_10:
	s_or_b64 exec, exec, s[10:11]
	s_and_saveexec_b64 s[0:1], vcc
	s_cbranch_execz .LBB43_14
; %bb.11:
	v_lshlrev_b32_e32 v3, 2, v2
	s_mov_b64 s[10:11], 0
.LBB43_12:                              ; =>This Inner Loop Header: Depth=1
	ds_read_b32 v4, v3
	v_add_u32_e32 v2, 64, v2
	v_cmp_le_u32_e32 vcc, s7, v2
	v_add_u32_e32 v3, 0x100, v3
	s_or_b64 s[10:11], vcc, s[10:11]
	s_waitcnt vmcnt(0) lgkmcnt(0)
	v_add_u32_e32 v1, v4, v1
	s_andn2_b64 exec, exec, s[10:11]
	s_cbranch_execnz .LBB43_12
; %bb.13:
	s_or_b64 exec, exec, s[10:11]
.LBB43_14:
	s_or_b64 exec, exec, s[0:1]
.LBB43_15:
	s_or_b64 exec, exec, s[8:9]
	v_mbcnt_lo_u32_b32 v2, -1, 0
	v_mbcnt_hi_u32_b32 v2, -1, v2
	v_and_b32_e32 v3, 63, v2
	v_cmp_ne_u32_e32 vcc, 63, v3
	v_addc_co_u32_e32 v4, vcc, 0, v2, vcc
	v_lshlrev_b32_e32 v4, 2, v4
	s_waitcnt vmcnt(0)
	ds_bpermute_b32 v4, v4, v1
	v_add_u32_e32 v5, 1, v2
	v_cmp_gt_u32_e32 vcc, s7, v5
	v_add_u32_e32 v5, 2, v2
	s_waitcnt lgkmcnt(0)
	v_cndmask_b32_e32 v4, 0, v4, vcc
	v_cmp_gt_u32_e32 vcc, 62, v3
	v_add_u32_e32 v1, v4, v1
	v_cndmask_b32_e64 v4, 0, 1, vcc
	v_lshlrev_b32_e32 v4, 1, v4
	v_add_lshl_u32 v4, v4, v2, 2
	ds_bpermute_b32 v4, v4, v1
	v_cmp_gt_u32_e32 vcc, s7, v5
	v_add_u32_e32 v5, 4, v2
	s_waitcnt lgkmcnt(0)
	v_cndmask_b32_e32 v4, 0, v4, vcc
	v_cmp_gt_u32_e32 vcc, 60, v3
	v_add_u32_e32 v1, v1, v4
	v_cndmask_b32_e64 v4, 0, 1, vcc
	v_lshlrev_b32_e32 v4, 2, v4
	v_add_lshl_u32 v4, v4, v2, 2
	ds_bpermute_b32 v4, v4, v1
	;; [unrolled: 10-line block ×4, first 2 shown]
	v_cmp_gt_u32_e32 vcc, s7, v5
	s_waitcnt lgkmcnt(0)
	v_cndmask_b32_e32 v4, 0, v4, vcc
	v_cmp_gt_u32_e32 vcc, 32, v3
	v_cndmask_b32_e64 v3, 0, 1, vcc
	v_lshlrev_b32_e32 v3, 5, v3
	v_add_u32_e32 v1, v1, v4
	v_add_lshl_u32 v3, v3, v2, 2
	ds_bpermute_b32 v3, v3, v1
	v_add_u32_e32 v2, 32, v2
	v_cmp_gt_u32_e32 vcc, s7, v2
	s_waitcnt lgkmcnt(0)
	v_cndmask_b32_e32 v2, 0, v3, vcc
	v_add_u32_e32 v1, v1, v2
.LBB43_16:
	s_or_b64 exec, exec, s[4:5]
	s_mov_b32 s7, 0
	v_cmp_eq_u32_e32 vcc, 0, v0
	s_and_saveexec_b64 s[0:1], vcc
	s_cbranch_execz .LBB43_18
; %bb.17:
	s_lshl_b64 s[0:1], s[6:7], 2
	s_add_u32 s0, s2, s0
	s_addc_u32 s1, s3, s1
	v_mov_b32_e32 v0, 0
	s_waitcnt vmcnt(0)
	global_store_dword v0, v1, s[0:1]
.LBB43_18:
	s_endpgm
	.section	.rodata,"a",@progbits
	.p2align	6, 0x0
	.amdhsa_kernel _Z19reduce_valid_kernelILj255ELN6hipcub20BlockReduceAlgorithmE2EjEvPT1_S3_j
		.amdhsa_group_segment_fixed_size 1020
		.amdhsa_private_segment_fixed_size 0
		.amdhsa_kernarg_size 20
		.amdhsa_user_sgpr_count 6
		.amdhsa_user_sgpr_private_segment_buffer 1
		.amdhsa_user_sgpr_dispatch_ptr 0
		.amdhsa_user_sgpr_queue_ptr 0
		.amdhsa_user_sgpr_kernarg_segment_ptr 1
		.amdhsa_user_sgpr_dispatch_id 0
		.amdhsa_user_sgpr_flat_scratch_init 0
		.amdhsa_user_sgpr_kernarg_preload_length 0
		.amdhsa_user_sgpr_kernarg_preload_offset 0
		.amdhsa_user_sgpr_private_segment_size 0
		.amdhsa_uses_dynamic_stack 0
		.amdhsa_system_sgpr_private_segment_wavefront_offset 0
		.amdhsa_system_sgpr_workgroup_id_x 1
		.amdhsa_system_sgpr_workgroup_id_y 0
		.amdhsa_system_sgpr_workgroup_id_z 0
		.amdhsa_system_sgpr_workgroup_info 0
		.amdhsa_system_vgpr_workitem_id 0
		.amdhsa_next_free_vgpr 11
		.amdhsa_next_free_sgpr 16
		.amdhsa_accum_offset 12
		.amdhsa_reserve_vcc 1
		.amdhsa_reserve_flat_scratch 0
		.amdhsa_float_round_mode_32 0
		.amdhsa_float_round_mode_16_64 0
		.amdhsa_float_denorm_mode_32 3
		.amdhsa_float_denorm_mode_16_64 3
		.amdhsa_dx10_clamp 1
		.amdhsa_ieee_mode 1
		.amdhsa_fp16_overflow 0
		.amdhsa_tg_split 0
		.amdhsa_exception_fp_ieee_invalid_op 0
		.amdhsa_exception_fp_denorm_src 0
		.amdhsa_exception_fp_ieee_div_zero 0
		.amdhsa_exception_fp_ieee_overflow 0
		.amdhsa_exception_fp_ieee_underflow 0
		.amdhsa_exception_fp_ieee_inexact 0
		.amdhsa_exception_int_div_zero 0
	.end_amdhsa_kernel
	.section	.text._Z19reduce_valid_kernelILj255ELN6hipcub20BlockReduceAlgorithmE2EjEvPT1_S3_j,"axG",@progbits,_Z19reduce_valid_kernelILj255ELN6hipcub20BlockReduceAlgorithmE2EjEvPT1_S3_j,comdat
.Lfunc_end43:
	.size	_Z19reduce_valid_kernelILj255ELN6hipcub20BlockReduceAlgorithmE2EjEvPT1_S3_j, .Lfunc_end43-_Z19reduce_valid_kernelILj255ELN6hipcub20BlockReduceAlgorithmE2EjEvPT1_S3_j
                                        ; -- End function
	.section	.AMDGPU.csdata,"",@progbits
; Kernel info:
; codeLenInByte = 832
; NumSgprs: 20
; NumVgprs: 11
; NumAgprs: 0
; TotalNumVgprs: 11
; ScratchSize: 0
; MemoryBound: 0
; FloatMode: 240
; IeeeMode: 1
; LDSByteSize: 1020 bytes/workgroup (compile time only)
; SGPRBlocks: 2
; VGPRBlocks: 1
; NumSGPRsForWavesPerEU: 20
; NumVGPRsForWavesPerEU: 11
; AccumOffset: 12
; Occupancy: 8
; WaveLimiterHint : 0
; COMPUTE_PGM_RSRC2:SCRATCH_EN: 0
; COMPUTE_PGM_RSRC2:USER_SGPR: 6
; COMPUTE_PGM_RSRC2:TRAP_HANDLER: 0
; COMPUTE_PGM_RSRC2:TGID_X_EN: 1
; COMPUTE_PGM_RSRC2:TGID_Y_EN: 0
; COMPUTE_PGM_RSRC2:TGID_Z_EN: 0
; COMPUTE_PGM_RSRC2:TIDIG_COMP_CNT: 0
; COMPUTE_PGM_RSRC3_GFX90A:ACCUM_OFFSET: 2
; COMPUTE_PGM_RSRC3_GFX90A:TG_SPLIT: 0
	.section	.text._Z19reduce_valid_kernelILj162ELN6hipcub20BlockReduceAlgorithmE2EsEvPT1_S3_j,"axG",@progbits,_Z19reduce_valid_kernelILj162ELN6hipcub20BlockReduceAlgorithmE2EsEvPT1_S3_j,comdat
	.protected	_Z19reduce_valid_kernelILj162ELN6hipcub20BlockReduceAlgorithmE2EsEvPT1_S3_j ; -- Begin function _Z19reduce_valid_kernelILj162ELN6hipcub20BlockReduceAlgorithmE2EsEvPT1_S3_j
	.globl	_Z19reduce_valid_kernelILj162ELN6hipcub20BlockReduceAlgorithmE2EsEvPT1_S3_j
	.p2align	8
	.type	_Z19reduce_valid_kernelILj162ELN6hipcub20BlockReduceAlgorithmE2EsEvPT1_S3_j,@function
_Z19reduce_valid_kernelILj162ELN6hipcub20BlockReduceAlgorithmE2EsEvPT1_S3_j: ; @_Z19reduce_valid_kernelILj162ELN6hipcub20BlockReduceAlgorithmE2EsEvPT1_S3_j
; %bb.0:
	s_load_dwordx4 s[8:11], s[4:5], 0x0
	s_load_dword s7, s[4:5], 0x10
	s_mul_i32 s0, s6, 0xa2
	v_add_u32_e32 v2, s0, v0
	v_mov_b32_e32 v3, 0
	v_lshlrev_b64 v[2:3], 1, v[2:3]
	s_waitcnt lgkmcnt(0)
	v_mov_b32_e32 v1, s9
	v_add_co_u32_e32 v2, vcc, s8, v2
	v_addc_co_u32_e32 v3, vcc, v1, v3, vcc
	global_load_ushort v1, v[2:3], off
	v_cmp_lt_u32_e32 vcc, 63, v0
	v_cmp_gt_u32_e64 s[0:1], s7, v0
	s_and_b64 s[2:3], vcc, s[0:1]
	s_and_saveexec_b64 s[0:1], s[2:3]
	s_cbranch_execz .LBB44_2
; %bb.1:
	v_lshlrev_b32_e32 v2, 1, v0
	s_waitcnt vmcnt(0)
	ds_write_b16 v2, v1
.LBB44_2:
	s_or_b64 exec, exec, s[0:1]
	v_cmp_gt_u32_e32 vcc, 64, v0
	s_waitcnt lgkmcnt(0)
	s_barrier
	s_and_saveexec_b64 s[8:9], vcc
	s_cbranch_execz .LBB44_16
; %bb.3:
	v_or_b32_e32 v2, 64, v0
	v_cmp_gt_u32_e32 vcc, s7, v2
	s_and_saveexec_b64 s[2:3], vcc
	s_cbranch_execz .LBB44_15
; %bb.4:
	v_sub_u32_e32 v3, s7, v0
	v_add_u32_e32 v3, 0xffffffbf, v3
	s_movk_i32 s0, 0x4c0
	v_cmp_gt_u32_e32 vcc, s0, v3
	s_movk_i32 s0, 0x4bf
	v_cmp_lt_u32_e64 s[0:1], s0, v3
	s_and_saveexec_b64 s[4:5], s[0:1]
	s_cbranch_execz .LBB44_10
; %bb.5:
	v_and_b32_e32 v4, 0xffffffc0, v3
	v_add_u32_e32 v4, v2, v4
	v_cmp_ge_i32_e64 s[0:1], v4, v2
	s_mov_b64 s[14:15], -1
	s_and_saveexec_b64 s[12:13], s[0:1]
	s_cbranch_execz .LBB44_9
; %bb.6:
	v_lshrrev_b32_e32 v3, 6, v3
	v_add_u32_e32 v8, 1, v3
	v_add_u32_e32 v5, 0xc0, v2
	;; [unrolled: 1-line block ×3, first 2 shown]
	v_and_b32_e32 v9, 0x7fffffc, v8
	v_add_u32_e32 v3, 64, v2
	v_pk_mov_b32 v[6:7], v[4:5], v[4:5] op_sel:[0,1]
	s_waitcnt vmcnt(0)
	v_and_b32_e32 v1, 0xffff, v1
	s_mov_b64 s[14:15], 0
	v_mov_b32_e32 v10, 0
	s_mov_b32 s16, 0x5040100
	v_mov_b32_e32 v11, v9
	v_pk_mov_b32 v[4:5], v[2:3], v[2:3] op_sel:[0,1]
.LBB44_7:                               ; =>This Inner Loop Header: Depth=1
	v_lshlrev_b32_e32 v3, 1, v4
	v_lshlrev_b32_e32 v12, 1, v5
	;; [unrolled: 1-line block ×4, first 2 shown]
	ds_read_u16 v13, v13
	ds_read_u16 v14, v14
	;; [unrolled: 1-line block ×4, first 2 shown]
	v_add_u32_e32 v11, -4, v11
	v_cmp_eq_u32_e64 s[0:1], 0, v11
	s_waitcnt lgkmcnt(2)
	v_perm_b32 v13, v14, v13, s16
	v_add_u32_e32 v7, 0x100, v7
	s_waitcnt lgkmcnt(0)
	v_perm_b32 v3, v12, v3, s16
	v_add_u32_e32 v6, 0x100, v6
	v_add_u32_e32 v5, 0x100, v5
	;; [unrolled: 1-line block ×3, first 2 shown]
	s_or_b64 s[14:15], s[0:1], s[14:15]
	v_pk_add_u16 v10, v13, v10
	v_pk_add_u16 v1, v3, v1
	s_andn2_b64 exec, exec, s[14:15]
	s_cbranch_execnz .LBB44_7
; %bb.8:
	s_or_b64 exec, exec, s[14:15]
	v_pk_add_u16 v1, v1, v10
	v_cmp_ne_u32_e64 s[0:1], v8, v9
	v_lshl_or_b32 v2, v9, 6, v2
	v_add_u16_sdwa v1, v1, v1 dst_sel:DWORD dst_unused:UNUSED_PAD src0_sel:DWORD src1_sel:WORD_1
	s_orn2_b64 s[14:15], s[0:1], exec
.LBB44_9:
	s_or_b64 exec, exec, s[12:13]
	s_andn2_b64 s[0:1], vcc, exec
	s_and_b64 s[12:13], s[14:15], exec
	s_or_b64 vcc, s[0:1], s[12:13]
.LBB44_10:
	s_or_b64 exec, exec, s[4:5]
	s_and_saveexec_b64 s[0:1], vcc
	s_cbranch_execz .LBB44_14
; %bb.11:
	v_lshlrev_b32_e32 v3, 1, v2
	s_mov_b64 s[4:5], 0
.LBB44_12:                              ; =>This Inner Loop Header: Depth=1
	ds_read_u16 v4, v3
	v_add_u32_e32 v2, 64, v2
	v_cmp_le_u32_e32 vcc, s7, v2
	v_add_u32_e32 v3, 0x80, v3
	s_or_b64 s[4:5], vcc, s[4:5]
	s_waitcnt vmcnt(0) lgkmcnt(0)
	v_add_u16_e32 v1, v4, v1
	s_andn2_b64 exec, exec, s[4:5]
	s_cbranch_execnz .LBB44_12
; %bb.13:
	s_or_b64 exec, exec, s[4:5]
.LBB44_14:
	s_or_b64 exec, exec, s[0:1]
.LBB44_15:
	s_or_b64 exec, exec, s[2:3]
	v_mbcnt_lo_u32_b32 v2, -1, 0
	v_mbcnt_hi_u32_b32 v2, -1, v2
	v_and_b32_e32 v3, 63, v2
	v_cmp_ne_u32_e32 vcc, 63, v3
	v_addc_co_u32_e32 v5, vcc, 0, v2, vcc
	s_waitcnt vmcnt(0)
	v_and_b32_e32 v4, 0xffff, v1
	v_lshlrev_b32_e32 v5, 2, v5
	ds_bpermute_b32 v5, v5, v4
	v_add_u32_e32 v6, 1, v2
	v_cmp_gt_u32_e64 s[0:1], 62, v3
	v_cmp_gt_u32_e32 vcc, s7, v6
	v_cndmask_b32_e64 v6, 0, 1, s[0:1]
	s_waitcnt lgkmcnt(0)
	v_add_u16_e32 v5, v1, v5
	v_lshlrev_b32_e32 v6, 1, v6
	v_cndmask_b32_e32 v4, v4, v5, vcc
	v_add_lshl_u32 v6, v6, v2, 2
	ds_bpermute_b32 v6, v6, v4
	v_add_u32_e32 v7, 2, v2
	v_cmp_gt_u32_e64 s[2:3], 60, v3
	v_cndmask_b32_e32 v5, v1, v5, vcc
	v_cmp_gt_u32_e64 s[0:1], s7, v7
	v_cndmask_b32_e64 v7, 0, 1, s[2:3]
	s_waitcnt lgkmcnt(0)
	v_add_u16_e32 v6, v5, v6
	v_lshlrev_b32_e32 v7, 2, v7
	v_cndmask_b32_e64 v4, v4, v6, s[0:1]
	v_add_lshl_u32 v7, v7, v2, 2
	ds_bpermute_b32 v7, v7, v4
	v_cndmask_b32_e64 v5, v5, v6, s[0:1]
	v_add_u32_e32 v6, 4, v2
	v_cmp_gt_u32_e64 s[4:5], 56, v3
	v_cmp_gt_u32_e64 s[2:3], s7, v6
	v_cndmask_b32_e64 v6, 0, 1, s[4:5]
	s_waitcnt lgkmcnt(0)
	v_add_u16_e32 v7, v5, v7
	v_lshlrev_b32_e32 v6, 3, v6
	v_cndmask_b32_e64 v4, v4, v7, s[2:3]
	v_add_lshl_u32 v6, v6, v2, 2
	ds_bpermute_b32 v6, v6, v4
	s_or_b64 s[4:5], vcc, s[0:1]
	v_cndmask_b32_e64 v5, v5, v7, s[2:3]
	v_add_u32_e32 v7, 8, v2
	v_cmp_gt_u32_e64 s[0:1], 48, v3
	v_cmp_gt_u32_e32 vcc, s7, v7
	v_cndmask_b32_e64 v7, 0, 1, s[0:1]
	s_waitcnt lgkmcnt(0)
	v_add_u16_e32 v6, v5, v6
	v_lshlrev_b32_e32 v7, 4, v7
	v_cndmask_b32_e32 v4, v4, v6, vcc
	v_add_lshl_u32 v7, v7, v2, 2
	ds_bpermute_b32 v7, v7, v4
	s_or_b64 s[0:1], s[2:3], s[4:5]
	s_or_b64 s[2:3], vcc, s[0:1]
	v_cmp_gt_u32_e64 s[0:1], 32, v3
	v_cndmask_b32_e32 v5, v5, v6, vcc
	v_add_u32_e32 v6, 16, v2
	v_cndmask_b32_e64 v3, 0, 1, s[0:1]
	s_waitcnt lgkmcnt(0)
	v_add_u16_e32 v7, v5, v7
	v_cmp_gt_u32_e32 vcc, s7, v6
	v_lshlrev_b32_e32 v3, 5, v3
	v_cndmask_b32_e32 v4, v4, v7, vcc
	v_add_lshl_u32 v3, v3, v2, 2
	ds_bpermute_b32 v3, v3, v4
	v_add_u32_e32 v2, 32, v2
	s_or_b64 s[0:1], vcc, s[2:3]
	v_cndmask_b32_e32 v4, v5, v7, vcc
	v_cmp_gt_u32_e32 vcc, s7, v2
	s_waitcnt lgkmcnt(0)
	v_cndmask_b32_e32 v2, 0, v3, vcc
	v_add_u16_e32 v2, v4, v2
	s_or_b64 vcc, vcc, s[0:1]
	v_cndmask_b32_e32 v1, v1, v2, vcc
.LBB44_16:
	s_or_b64 exec, exec, s[8:9]
	s_mov_b32 s7, 0
	v_cmp_eq_u32_e32 vcc, 0, v0
	s_and_saveexec_b64 s[0:1], vcc
	s_cbranch_execz .LBB44_18
; %bb.17:
	s_lshl_b64 s[0:1], s[6:7], 1
	s_add_u32 s0, s10, s0
	s_addc_u32 s1, s11, s1
	v_mov_b32_e32 v0, 0
	s_waitcnt vmcnt(0)
	global_store_short v0, v1, s[0:1]
.LBB44_18:
	s_endpgm
	.section	.rodata,"a",@progbits
	.p2align	6, 0x0
	.amdhsa_kernel _Z19reduce_valid_kernelILj162ELN6hipcub20BlockReduceAlgorithmE2EsEvPT1_S3_j
		.amdhsa_group_segment_fixed_size 324
		.amdhsa_private_segment_fixed_size 0
		.amdhsa_kernarg_size 20
		.amdhsa_user_sgpr_count 6
		.amdhsa_user_sgpr_private_segment_buffer 1
		.amdhsa_user_sgpr_dispatch_ptr 0
		.amdhsa_user_sgpr_queue_ptr 0
		.amdhsa_user_sgpr_kernarg_segment_ptr 1
		.amdhsa_user_sgpr_dispatch_id 0
		.amdhsa_user_sgpr_flat_scratch_init 0
		.amdhsa_user_sgpr_kernarg_preload_length 0
		.amdhsa_user_sgpr_kernarg_preload_offset 0
		.amdhsa_user_sgpr_private_segment_size 0
		.amdhsa_uses_dynamic_stack 0
		.amdhsa_system_sgpr_private_segment_wavefront_offset 0
		.amdhsa_system_sgpr_workgroup_id_x 1
		.amdhsa_system_sgpr_workgroup_id_y 0
		.amdhsa_system_sgpr_workgroup_id_z 0
		.amdhsa_system_sgpr_workgroup_info 0
		.amdhsa_system_vgpr_workitem_id 0
		.amdhsa_next_free_vgpr 15
		.amdhsa_next_free_sgpr 17
		.amdhsa_accum_offset 16
		.amdhsa_reserve_vcc 1
		.amdhsa_reserve_flat_scratch 0
		.amdhsa_float_round_mode_32 0
		.amdhsa_float_round_mode_16_64 0
		.amdhsa_float_denorm_mode_32 3
		.amdhsa_float_denorm_mode_16_64 3
		.amdhsa_dx10_clamp 1
		.amdhsa_ieee_mode 1
		.amdhsa_fp16_overflow 0
		.amdhsa_tg_split 0
		.amdhsa_exception_fp_ieee_invalid_op 0
		.amdhsa_exception_fp_denorm_src 0
		.amdhsa_exception_fp_ieee_div_zero 0
		.amdhsa_exception_fp_ieee_overflow 0
		.amdhsa_exception_fp_ieee_underflow 0
		.amdhsa_exception_fp_ieee_inexact 0
		.amdhsa_exception_int_div_zero 0
	.end_amdhsa_kernel
	.section	.text._Z19reduce_valid_kernelILj162ELN6hipcub20BlockReduceAlgorithmE2EsEvPT1_S3_j,"axG",@progbits,_Z19reduce_valid_kernelILj162ELN6hipcub20BlockReduceAlgorithmE2EsEvPT1_S3_j,comdat
.Lfunc_end44:
	.size	_Z19reduce_valid_kernelILj162ELN6hipcub20BlockReduceAlgorithmE2EsEvPT1_S3_j, .Lfunc_end44-_Z19reduce_valid_kernelILj162ELN6hipcub20BlockReduceAlgorithmE2EsEvPT1_S3_j
                                        ; -- End function
	.section	.AMDGPU.csdata,"",@progbits
; Kernel info:
; codeLenInByte = 1048
; NumSgprs: 21
; NumVgprs: 15
; NumAgprs: 0
; TotalNumVgprs: 15
; ScratchSize: 0
; MemoryBound: 0
; FloatMode: 240
; IeeeMode: 1
; LDSByteSize: 324 bytes/workgroup (compile time only)
; SGPRBlocks: 2
; VGPRBlocks: 1
; NumSGPRsForWavesPerEU: 21
; NumVGPRsForWavesPerEU: 15
; AccumOffset: 16
; Occupancy: 8
; WaveLimiterHint : 0
; COMPUTE_PGM_RSRC2:SCRATCH_EN: 0
; COMPUTE_PGM_RSRC2:USER_SGPR: 6
; COMPUTE_PGM_RSRC2:TRAP_HANDLER: 0
; COMPUTE_PGM_RSRC2:TGID_X_EN: 1
; COMPUTE_PGM_RSRC2:TGID_Y_EN: 0
; COMPUTE_PGM_RSRC2:TGID_Z_EN: 0
; COMPUTE_PGM_RSRC2:TIDIG_COMP_CNT: 0
; COMPUTE_PGM_RSRC3_GFX90A:ACCUM_OFFSET: 3
; COMPUTE_PGM_RSRC3_GFX90A:TG_SPLIT: 0
	.section	.text._Z19reduce_valid_kernelILj37ELN6hipcub20BlockReduceAlgorithmE2ElEvPT1_S3_j,"axG",@progbits,_Z19reduce_valid_kernelILj37ELN6hipcub20BlockReduceAlgorithmE2ElEvPT1_S3_j,comdat
	.protected	_Z19reduce_valid_kernelILj37ELN6hipcub20BlockReduceAlgorithmE2ElEvPT1_S3_j ; -- Begin function _Z19reduce_valid_kernelILj37ELN6hipcub20BlockReduceAlgorithmE2ElEvPT1_S3_j
	.globl	_Z19reduce_valid_kernelILj37ELN6hipcub20BlockReduceAlgorithmE2ElEvPT1_S3_j
	.p2align	8
	.type	_Z19reduce_valid_kernelILj37ELN6hipcub20BlockReduceAlgorithmE2ElEvPT1_S3_j,@function
_Z19reduce_valid_kernelILj37ELN6hipcub20BlockReduceAlgorithmE2ElEvPT1_S3_j: ; @_Z19reduce_valid_kernelILj37ELN6hipcub20BlockReduceAlgorithmE2ElEvPT1_S3_j
; %bb.0:
	s_load_dwordx4 s[8:11], s[4:5], 0x0
	s_load_dword s7, s[4:5], 0x10
	v_mad_u64_u32 v[2:3], s[0:1], s6, 37, v[0:1]
	v_mov_b32_e32 v3, 0
	v_lshlrev_b64 v[2:3], 3, v[2:3]
	s_waitcnt lgkmcnt(0)
	v_mov_b32_e32 v1, s9
	v_add_co_u32_e32 v2, vcc, s8, v2
	v_addc_co_u32_e32 v3, vcc, v1, v3, vcc
	global_load_dwordx2 v[2:3], v[2:3], off
	v_cmp_lt_u32_e32 vcc, 63, v0
	v_cmp_gt_u32_e64 s[0:1], s7, v0
	s_and_b64 s[2:3], vcc, s[0:1]
	s_and_saveexec_b64 s[0:1], s[2:3]
	s_cbranch_execz .LBB45_2
; %bb.1:
	v_lshlrev_b32_e32 v1, 2, v0
	s_waitcnt vmcnt(0)
	ds_write2_b32 v1, v2, v3 offset1:37
.LBB45_2:
	s_or_b64 exec, exec, s[0:1]
	v_cmp_gt_u32_e32 vcc, 64, v0
	s_waitcnt lgkmcnt(0)
	; wave barrier
	s_waitcnt lgkmcnt(0)
	s_and_saveexec_b64 s[4:5], vcc
	s_cbranch_execz .LBB45_8
; %bb.3:
	v_or_b32_e32 v1, 64, v0
	v_cmp_gt_u32_e32 vcc, s7, v1
	s_and_saveexec_b64 s[0:1], vcc
	s_cbranch_execz .LBB45_7
; %bb.4:
	v_mov_b32_e32 v4, 0x100
	v_lshl_or_b32 v4, v0, 2, v4
	s_mov_b64 s[2:3], 0
.LBB45_5:                               ; =>This Inner Loop Header: Depth=1
	ds_read2_b32 v[6:7], v4 offset1:37
	v_add_u32_e32 v1, 64, v1
	v_cmp_le_u32_e32 vcc, s7, v1
	s_or_b64 s[2:3], vcc, s[2:3]
	v_add_u32_e32 v4, 0x100, v4
	s_waitcnt vmcnt(0) lgkmcnt(0)
	v_add_co_u32_e32 v2, vcc, v6, v2
	v_addc_co_u32_e32 v3, vcc, v7, v3, vcc
	s_andn2_b64 exec, exec, s[2:3]
	s_cbranch_execnz .LBB45_5
; %bb.6:
	s_or_b64 exec, exec, s[2:3]
.LBB45_7:
	s_or_b64 exec, exec, s[0:1]
	v_mbcnt_lo_u32_b32 v1, -1, 0
	v_mbcnt_hi_u32_b32 v1, -1, v1
	v_and_b32_e32 v4, 63, v1
	v_cmp_ne_u32_e32 vcc, 63, v4
	v_addc_co_u32_e32 v5, vcc, 0, v1, vcc
	v_lshlrev_b32_e32 v5, 2, v5
	s_waitcnt vmcnt(0)
	ds_bpermute_b32 v6, v5, v2
	ds_bpermute_b32 v5, v5, v3
	v_add_u32_e32 v7, 1, v1
	v_cmp_gt_u32_e64 s[0:1], 62, v4
	v_add_u32_e32 v10, 2, v1
	s_waitcnt lgkmcnt(1)
	v_add_co_u32_e32 v6, vcc, v2, v6
	v_addc_co_u32_e32 v8, vcc, 0, v3, vcc
	v_add_co_u32_e32 v9, vcc, 0, v6
	s_waitcnt lgkmcnt(0)
	v_addc_co_u32_e32 v5, vcc, v5, v8, vcc
	v_cmp_gt_u32_e32 vcc, s7, v7
	v_cndmask_b32_e64 v7, 0, 1, s[0:1]
	v_lshlrev_b32_e32 v7, 1, v7
	v_cndmask_b32_e32 v6, v2, v6, vcc
	v_add_lshl_u32 v7, v7, v1, 2
	v_cndmask_b32_e32 v5, v3, v5, vcc
	ds_bpermute_b32 v8, v7, v6
	ds_bpermute_b32 v7, v7, v5
	v_cndmask_b32_e32 v9, v2, v9, vcc
	v_cmp_gt_u32_e64 s[2:3], 60, v4
	s_waitcnt lgkmcnt(1)
	v_add_co_u32_e64 v8, s[0:1], v8, v9
	s_waitcnt lgkmcnt(0)
	v_addc_co_u32_e64 v7, s[0:1], v7, v5, s[0:1]
	v_cmp_gt_u32_e64 s[0:1], s7, v10
	v_cndmask_b32_e64 v6, v6, v8, s[0:1]
	v_cndmask_b32_e64 v5, v5, v7, s[0:1]
	;; [unrolled: 1-line block ×4, first 2 shown]
	v_lshlrev_b32_e32 v8, 2, v8
	v_add_lshl_u32 v8, v8, v1, 2
	ds_bpermute_b32 v9, v8, v6
	ds_bpermute_b32 v8, v8, v5
	s_or_b64 s[2:3], vcc, s[0:1]
	v_add_u32_e32 v10, 4, v1
	v_cmp_gt_u32_e64 s[0:1], 56, v4
	s_waitcnt lgkmcnt(1)
	v_add_co_u32_e32 v9, vcc, v9, v7
	s_waitcnt lgkmcnt(0)
	v_addc_co_u32_e32 v8, vcc, v8, v5, vcc
	v_cmp_gt_u32_e32 vcc, s7, v10
	v_cndmask_b32_e32 v5, v5, v8, vcc
	v_cndmask_b32_e64 v8, 0, 1, s[0:1]
	v_lshlrev_b32_e32 v8, 3, v8
	v_cndmask_b32_e32 v6, v6, v9, vcc
	v_add_lshl_u32 v8, v8, v1, 2
	v_cndmask_b32_e32 v7, v7, v9, vcc
	ds_bpermute_b32 v9, v8, v6
	ds_bpermute_b32 v8, v8, v5
	s_or_b64 s[2:3], vcc, s[2:3]
	v_add_u32_e32 v10, 8, v1
	v_cmp_gt_u32_e64 s[0:1], 48, v4
	s_waitcnt lgkmcnt(1)
	v_add_co_u32_e32 v9, vcc, v9, v7
	s_waitcnt lgkmcnt(0)
	v_addc_co_u32_e32 v8, vcc, v8, v5, vcc
	v_cmp_gt_u32_e32 vcc, s7, v10
	v_cndmask_b32_e32 v5, v5, v8, vcc
	v_cndmask_b32_e64 v8, 0, 1, s[0:1]
	v_lshlrev_b32_e32 v8, 4, v8
	v_cndmask_b32_e32 v6, v6, v9, vcc
	v_add_lshl_u32 v8, v8, v1, 2
	v_cndmask_b32_e32 v7, v7, v9, vcc
	ds_bpermute_b32 v9, v8, v6
	ds_bpermute_b32 v8, v8, v5
	s_or_b64 s[0:1], vcc, s[2:3]
	v_add_u32_e32 v10, 16, v1
	s_waitcnt lgkmcnt(1)
	v_add_co_u32_e32 v9, vcc, v9, v7
	s_waitcnt lgkmcnt(0)
	v_addc_co_u32_e32 v8, vcc, v8, v5, vcc
	v_cmp_gt_u32_e32 vcc, s7, v10
	s_or_b64 s[2:3], vcc, s[0:1]
	v_cmp_gt_u32_e64 s[0:1], 32, v4
	v_cndmask_b32_e64 v4, 0, 1, s[0:1]
	v_lshlrev_b32_e32 v4, 5, v4
	v_cndmask_b32_e32 v6, v6, v9, vcc
	v_add_lshl_u32 v4, v4, v1, 2
	v_cndmask_b32_e32 v5, v5, v8, vcc
	ds_bpermute_b32 v8, v4, v5
	ds_bpermute_b32 v4, v4, v6
	v_add_u32_e32 v1, 32, v1
	v_cndmask_b32_e32 v6, v7, v9, vcc
	v_cmp_gt_u32_e32 vcc, s7, v1
	s_waitcnt lgkmcnt(1)
	v_cndmask_b32_e32 v1, 0, v8, vcc
	s_waitcnt lgkmcnt(0)
	v_cndmask_b32_e32 v4, 0, v4, vcc
	v_add_co_u32_e64 v4, s[0:1], v4, v6
	v_addc_co_u32_e64 v1, s[0:1], v1, v5, s[0:1]
	s_or_b64 vcc, vcc, s[2:3]
	v_cndmask_b32_e32 v3, v3, v1, vcc
	v_cndmask_b32_e32 v2, v2, v4, vcc
.LBB45_8:
	s_or_b64 exec, exec, s[4:5]
	s_mov_b32 s7, 0
	v_cmp_eq_u32_e32 vcc, 0, v0
	s_and_saveexec_b64 s[0:1], vcc
	s_cbranch_execz .LBB45_10
; %bb.9:
	s_lshl_b64 s[0:1], s[6:7], 3
	s_add_u32 s0, s10, s0
	s_addc_u32 s1, s11, s1
	v_mov_b32_e32 v0, 0
	s_waitcnt vmcnt(0)
	global_store_dwordx2 v0, v[2:3], s[0:1]
.LBB45_10:
	s_endpgm
	.section	.rodata,"a",@progbits
	.p2align	6, 0x0
	.amdhsa_kernel _Z19reduce_valid_kernelILj37ELN6hipcub20BlockReduceAlgorithmE2ElEvPT1_S3_j
		.amdhsa_group_segment_fixed_size 296
		.amdhsa_private_segment_fixed_size 0
		.amdhsa_kernarg_size 20
		.amdhsa_user_sgpr_count 6
		.amdhsa_user_sgpr_private_segment_buffer 1
		.amdhsa_user_sgpr_dispatch_ptr 0
		.amdhsa_user_sgpr_queue_ptr 0
		.amdhsa_user_sgpr_kernarg_segment_ptr 1
		.amdhsa_user_sgpr_dispatch_id 0
		.amdhsa_user_sgpr_flat_scratch_init 0
		.amdhsa_user_sgpr_kernarg_preload_length 0
		.amdhsa_user_sgpr_kernarg_preload_offset 0
		.amdhsa_user_sgpr_private_segment_size 0
		.amdhsa_uses_dynamic_stack 0
		.amdhsa_system_sgpr_private_segment_wavefront_offset 0
		.amdhsa_system_sgpr_workgroup_id_x 1
		.amdhsa_system_sgpr_workgroup_id_y 0
		.amdhsa_system_sgpr_workgroup_id_z 0
		.amdhsa_system_sgpr_workgroup_info 0
		.amdhsa_system_vgpr_workitem_id 0
		.amdhsa_next_free_vgpr 11
		.amdhsa_next_free_sgpr 12
		.amdhsa_accum_offset 12
		.amdhsa_reserve_vcc 1
		.amdhsa_reserve_flat_scratch 0
		.amdhsa_float_round_mode_32 0
		.amdhsa_float_round_mode_16_64 0
		.amdhsa_float_denorm_mode_32 3
		.amdhsa_float_denorm_mode_16_64 3
		.amdhsa_dx10_clamp 1
		.amdhsa_ieee_mode 1
		.amdhsa_fp16_overflow 0
		.amdhsa_tg_split 0
		.amdhsa_exception_fp_ieee_invalid_op 0
		.amdhsa_exception_fp_denorm_src 0
		.amdhsa_exception_fp_ieee_div_zero 0
		.amdhsa_exception_fp_ieee_overflow 0
		.amdhsa_exception_fp_ieee_underflow 0
		.amdhsa_exception_fp_ieee_inexact 0
		.amdhsa_exception_int_div_zero 0
	.end_amdhsa_kernel
	.section	.text._Z19reduce_valid_kernelILj37ELN6hipcub20BlockReduceAlgorithmE2ElEvPT1_S3_j,"axG",@progbits,_Z19reduce_valid_kernelILj37ELN6hipcub20BlockReduceAlgorithmE2ElEvPT1_S3_j,comdat
.Lfunc_end45:
	.size	_Z19reduce_valid_kernelILj37ELN6hipcub20BlockReduceAlgorithmE2ElEvPT1_S3_j, .Lfunc_end45-_Z19reduce_valid_kernelILj37ELN6hipcub20BlockReduceAlgorithmE2ElEvPT1_S3_j
                                        ; -- End function
	.section	.AMDGPU.csdata,"",@progbits
; Kernel info:
; codeLenInByte = 820
; NumSgprs: 16
; NumVgprs: 11
; NumAgprs: 0
; TotalNumVgprs: 11
; ScratchSize: 0
; MemoryBound: 0
; FloatMode: 240
; IeeeMode: 1
; LDSByteSize: 296 bytes/workgroup (compile time only)
; SGPRBlocks: 1
; VGPRBlocks: 1
; NumSGPRsForWavesPerEU: 16
; NumVGPRsForWavesPerEU: 11
; AccumOffset: 12
; Occupancy: 8
; WaveLimiterHint : 0
; COMPUTE_PGM_RSRC2:SCRATCH_EN: 0
; COMPUTE_PGM_RSRC2:USER_SGPR: 6
; COMPUTE_PGM_RSRC2:TRAP_HANDLER: 0
; COMPUTE_PGM_RSRC2:TGID_X_EN: 1
; COMPUTE_PGM_RSRC2:TGID_Y_EN: 0
; COMPUTE_PGM_RSRC2:TGID_Z_EN: 0
; COMPUTE_PGM_RSRC2:TIDIG_COMP_CNT: 0
; COMPUTE_PGM_RSRC3_GFX90A:ACCUM_OFFSET: 2
; COMPUTE_PGM_RSRC3_GFX90A:TG_SPLIT: 0
	.section	.text._Z19reduce_valid_kernelILj65ELN6hipcub20BlockReduceAlgorithmE2EmEvPT1_S3_j,"axG",@progbits,_Z19reduce_valid_kernelILj65ELN6hipcub20BlockReduceAlgorithmE2EmEvPT1_S3_j,comdat
	.protected	_Z19reduce_valid_kernelILj65ELN6hipcub20BlockReduceAlgorithmE2EmEvPT1_S3_j ; -- Begin function _Z19reduce_valid_kernelILj65ELN6hipcub20BlockReduceAlgorithmE2EmEvPT1_S3_j
	.globl	_Z19reduce_valid_kernelILj65ELN6hipcub20BlockReduceAlgorithmE2EmEvPT1_S3_j
	.p2align	8
	.type	_Z19reduce_valid_kernelILj65ELN6hipcub20BlockReduceAlgorithmE2EmEvPT1_S3_j,@function
_Z19reduce_valid_kernelILj65ELN6hipcub20BlockReduceAlgorithmE2EmEvPT1_S3_j: ; @_Z19reduce_valid_kernelILj65ELN6hipcub20BlockReduceAlgorithmE2EmEvPT1_S3_j
; %bb.0:
	s_load_dwordx4 s[8:11], s[4:5], 0x0
	s_load_dword s7, s[4:5], 0x10
	s_mul_i32 s0, s6, 0x41
	v_add_u32_e32 v2, s0, v0
	v_mov_b32_e32 v3, 0
	v_lshlrev_b64 v[2:3], 3, v[2:3]
	s_waitcnt lgkmcnt(0)
	v_mov_b32_e32 v1, s9
	v_add_co_u32_e32 v2, vcc, s8, v2
	v_addc_co_u32_e32 v3, vcc, v1, v3, vcc
	global_load_dwordx2 v[2:3], v[2:3], off
	v_cmp_lt_u32_e32 vcc, 63, v0
	v_cmp_gt_u32_e64 s[0:1], s7, v0
	s_and_b64 s[2:3], vcc, s[0:1]
	s_and_saveexec_b64 s[0:1], s[2:3]
	s_cbranch_execz .LBB46_2
; %bb.1:
	v_lshlrev_b32_e32 v1, 2, v0
	s_waitcnt vmcnt(0)
	ds_write2_b32 v1, v2, v3 offset1:65
.LBB46_2:
	s_or_b64 exec, exec, s[0:1]
	v_cmp_gt_u32_e32 vcc, 64, v0
	s_waitcnt lgkmcnt(0)
	s_barrier
	s_and_saveexec_b64 s[4:5], vcc
	s_cbranch_execz .LBB46_8
; %bb.3:
	v_or_b32_e32 v1, 64, v0
	v_cmp_gt_u32_e32 vcc, s7, v1
	s_and_saveexec_b64 s[0:1], vcc
	s_cbranch_execz .LBB46_7
; %bb.4:
	v_mov_b32_e32 v4, 0x100
	v_lshl_add_u32 v4, v0, 2, v4
	s_mov_b64 s[2:3], 0
.LBB46_5:                               ; =>This Inner Loop Header: Depth=1
	ds_read2_b32 v[6:7], v4 offset1:65
	v_add_u32_e32 v1, 64, v1
	v_cmp_le_u32_e32 vcc, s7, v1
	s_or_b64 s[2:3], vcc, s[2:3]
	v_add_u32_e32 v4, 0x100, v4
	s_waitcnt vmcnt(0) lgkmcnt(0)
	v_add_co_u32_e32 v2, vcc, v6, v2
	v_addc_co_u32_e32 v3, vcc, v7, v3, vcc
	s_andn2_b64 exec, exec, s[2:3]
	s_cbranch_execnz .LBB46_5
; %bb.6:
	s_or_b64 exec, exec, s[2:3]
.LBB46_7:
	s_or_b64 exec, exec, s[0:1]
	v_mbcnt_lo_u32_b32 v1, -1, 0
	v_mbcnt_hi_u32_b32 v1, -1, v1
	v_and_b32_e32 v4, 63, v1
	v_cmp_ne_u32_e32 vcc, 63, v4
	v_addc_co_u32_e32 v5, vcc, 0, v1, vcc
	v_lshlrev_b32_e32 v5, 2, v5
	s_waitcnt vmcnt(0)
	ds_bpermute_b32 v6, v5, v2
	ds_bpermute_b32 v5, v5, v3
	v_add_u32_e32 v7, 1, v1
	v_cmp_gt_u32_e64 s[0:1], 62, v4
	v_add_u32_e32 v10, 2, v1
	s_waitcnt lgkmcnt(1)
	v_add_co_u32_e32 v6, vcc, v2, v6
	v_addc_co_u32_e32 v8, vcc, 0, v3, vcc
	v_add_co_u32_e32 v9, vcc, 0, v6
	s_waitcnt lgkmcnt(0)
	v_addc_co_u32_e32 v5, vcc, v5, v8, vcc
	v_cmp_gt_u32_e32 vcc, s7, v7
	v_cndmask_b32_e64 v7, 0, 1, s[0:1]
	v_lshlrev_b32_e32 v7, 1, v7
	v_cndmask_b32_e32 v6, v2, v6, vcc
	v_add_lshl_u32 v7, v7, v1, 2
	v_cndmask_b32_e32 v5, v3, v5, vcc
	ds_bpermute_b32 v8, v7, v6
	ds_bpermute_b32 v7, v7, v5
	v_cndmask_b32_e32 v9, v2, v9, vcc
	v_cmp_gt_u32_e64 s[2:3], 60, v4
	s_waitcnt lgkmcnt(1)
	v_add_co_u32_e64 v8, s[0:1], v8, v9
	s_waitcnt lgkmcnt(0)
	v_addc_co_u32_e64 v7, s[0:1], v7, v5, s[0:1]
	v_cmp_gt_u32_e64 s[0:1], s7, v10
	v_cndmask_b32_e64 v6, v6, v8, s[0:1]
	v_cndmask_b32_e64 v5, v5, v7, s[0:1]
	;; [unrolled: 1-line block ×4, first 2 shown]
	v_lshlrev_b32_e32 v8, 2, v8
	v_add_lshl_u32 v8, v8, v1, 2
	ds_bpermute_b32 v9, v8, v6
	ds_bpermute_b32 v8, v8, v5
	s_or_b64 s[2:3], vcc, s[0:1]
	v_add_u32_e32 v10, 4, v1
	v_cmp_gt_u32_e64 s[0:1], 56, v4
	s_waitcnt lgkmcnt(1)
	v_add_co_u32_e32 v9, vcc, v9, v7
	s_waitcnt lgkmcnt(0)
	v_addc_co_u32_e32 v8, vcc, v8, v5, vcc
	v_cmp_gt_u32_e32 vcc, s7, v10
	v_cndmask_b32_e32 v5, v5, v8, vcc
	v_cndmask_b32_e64 v8, 0, 1, s[0:1]
	v_lshlrev_b32_e32 v8, 3, v8
	v_cndmask_b32_e32 v6, v6, v9, vcc
	v_add_lshl_u32 v8, v8, v1, 2
	v_cndmask_b32_e32 v7, v7, v9, vcc
	ds_bpermute_b32 v9, v8, v6
	ds_bpermute_b32 v8, v8, v5
	s_or_b64 s[2:3], vcc, s[2:3]
	v_add_u32_e32 v10, 8, v1
	v_cmp_gt_u32_e64 s[0:1], 48, v4
	s_waitcnt lgkmcnt(1)
	v_add_co_u32_e32 v9, vcc, v9, v7
	s_waitcnt lgkmcnt(0)
	v_addc_co_u32_e32 v8, vcc, v8, v5, vcc
	v_cmp_gt_u32_e32 vcc, s7, v10
	v_cndmask_b32_e32 v5, v5, v8, vcc
	v_cndmask_b32_e64 v8, 0, 1, s[0:1]
	v_lshlrev_b32_e32 v8, 4, v8
	v_cndmask_b32_e32 v6, v6, v9, vcc
	v_add_lshl_u32 v8, v8, v1, 2
	v_cndmask_b32_e32 v7, v7, v9, vcc
	ds_bpermute_b32 v9, v8, v6
	ds_bpermute_b32 v8, v8, v5
	s_or_b64 s[0:1], vcc, s[2:3]
	v_add_u32_e32 v10, 16, v1
	s_waitcnt lgkmcnt(1)
	v_add_co_u32_e32 v9, vcc, v9, v7
	s_waitcnt lgkmcnt(0)
	v_addc_co_u32_e32 v8, vcc, v8, v5, vcc
	v_cmp_gt_u32_e32 vcc, s7, v10
	s_or_b64 s[2:3], vcc, s[0:1]
	v_cmp_gt_u32_e64 s[0:1], 32, v4
	v_cndmask_b32_e64 v4, 0, 1, s[0:1]
	v_lshlrev_b32_e32 v4, 5, v4
	v_cndmask_b32_e32 v6, v6, v9, vcc
	v_add_lshl_u32 v4, v4, v1, 2
	v_cndmask_b32_e32 v5, v5, v8, vcc
	ds_bpermute_b32 v8, v4, v5
	ds_bpermute_b32 v4, v4, v6
	v_add_u32_e32 v1, 32, v1
	v_cndmask_b32_e32 v6, v7, v9, vcc
	v_cmp_gt_u32_e32 vcc, s7, v1
	s_waitcnt lgkmcnt(1)
	v_cndmask_b32_e32 v1, 0, v8, vcc
	s_waitcnt lgkmcnt(0)
	v_cndmask_b32_e32 v4, 0, v4, vcc
	v_add_co_u32_e64 v4, s[0:1], v4, v6
	v_addc_co_u32_e64 v1, s[0:1], v1, v5, s[0:1]
	s_or_b64 vcc, vcc, s[2:3]
	v_cndmask_b32_e32 v3, v3, v1, vcc
	v_cndmask_b32_e32 v2, v2, v4, vcc
.LBB46_8:
	s_or_b64 exec, exec, s[4:5]
	s_mov_b32 s7, 0
	v_cmp_eq_u32_e32 vcc, 0, v0
	s_and_saveexec_b64 s[0:1], vcc
	s_cbranch_execz .LBB46_10
; %bb.9:
	s_lshl_b64 s[0:1], s[6:7], 3
	s_add_u32 s0, s10, s0
	s_addc_u32 s1, s11, s1
	v_mov_b32_e32 v0, 0
	s_waitcnt vmcnt(0)
	global_store_dwordx2 v0, v[2:3], s[0:1]
.LBB46_10:
	s_endpgm
	.section	.rodata,"a",@progbits
	.p2align	6, 0x0
	.amdhsa_kernel _Z19reduce_valid_kernelILj65ELN6hipcub20BlockReduceAlgorithmE2EmEvPT1_S3_j
		.amdhsa_group_segment_fixed_size 520
		.amdhsa_private_segment_fixed_size 0
		.amdhsa_kernarg_size 20
		.amdhsa_user_sgpr_count 6
		.amdhsa_user_sgpr_private_segment_buffer 1
		.amdhsa_user_sgpr_dispatch_ptr 0
		.amdhsa_user_sgpr_queue_ptr 0
		.amdhsa_user_sgpr_kernarg_segment_ptr 1
		.amdhsa_user_sgpr_dispatch_id 0
		.amdhsa_user_sgpr_flat_scratch_init 0
		.amdhsa_user_sgpr_kernarg_preload_length 0
		.amdhsa_user_sgpr_kernarg_preload_offset 0
		.amdhsa_user_sgpr_private_segment_size 0
		.amdhsa_uses_dynamic_stack 0
		.amdhsa_system_sgpr_private_segment_wavefront_offset 0
		.amdhsa_system_sgpr_workgroup_id_x 1
		.amdhsa_system_sgpr_workgroup_id_y 0
		.amdhsa_system_sgpr_workgroup_id_z 0
		.amdhsa_system_sgpr_workgroup_info 0
		.amdhsa_system_vgpr_workitem_id 0
		.amdhsa_next_free_vgpr 11
		.amdhsa_next_free_sgpr 12
		.amdhsa_accum_offset 12
		.amdhsa_reserve_vcc 1
		.amdhsa_reserve_flat_scratch 0
		.amdhsa_float_round_mode_32 0
		.amdhsa_float_round_mode_16_64 0
		.amdhsa_float_denorm_mode_32 3
		.amdhsa_float_denorm_mode_16_64 3
		.amdhsa_dx10_clamp 1
		.amdhsa_ieee_mode 1
		.amdhsa_fp16_overflow 0
		.amdhsa_tg_split 0
		.amdhsa_exception_fp_ieee_invalid_op 0
		.amdhsa_exception_fp_denorm_src 0
		.amdhsa_exception_fp_ieee_div_zero 0
		.amdhsa_exception_fp_ieee_overflow 0
		.amdhsa_exception_fp_ieee_underflow 0
		.amdhsa_exception_fp_ieee_inexact 0
		.amdhsa_exception_int_div_zero 0
	.end_amdhsa_kernel
	.section	.text._Z19reduce_valid_kernelILj65ELN6hipcub20BlockReduceAlgorithmE2EmEvPT1_S3_j,"axG",@progbits,_Z19reduce_valid_kernelILj65ELN6hipcub20BlockReduceAlgorithmE2EmEvPT1_S3_j,comdat
.Lfunc_end46:
	.size	_Z19reduce_valid_kernelILj65ELN6hipcub20BlockReduceAlgorithmE2EmEvPT1_S3_j, .Lfunc_end46-_Z19reduce_valid_kernelILj65ELN6hipcub20BlockReduceAlgorithmE2EmEvPT1_S3_j
                                        ; -- End function
	.section	.AMDGPU.csdata,"",@progbits
; Kernel info:
; codeLenInByte = 824
; NumSgprs: 16
; NumVgprs: 11
; NumAgprs: 0
; TotalNumVgprs: 11
; ScratchSize: 0
; MemoryBound: 0
; FloatMode: 240
; IeeeMode: 1
; LDSByteSize: 520 bytes/workgroup (compile time only)
; SGPRBlocks: 1
; VGPRBlocks: 1
; NumSGPRsForWavesPerEU: 16
; NumVGPRsForWavesPerEU: 11
; AccumOffset: 12
; Occupancy: 8
; WaveLimiterHint : 0
; COMPUTE_PGM_RSRC2:SCRATCH_EN: 0
; COMPUTE_PGM_RSRC2:USER_SGPR: 6
; COMPUTE_PGM_RSRC2:TRAP_HANDLER: 0
; COMPUTE_PGM_RSRC2:TGID_X_EN: 1
; COMPUTE_PGM_RSRC2:TGID_Y_EN: 0
; COMPUTE_PGM_RSRC2:TGID_Z_EN: 0
; COMPUTE_PGM_RSRC2:TIDIG_COMP_CNT: 0
; COMPUTE_PGM_RSRC3_GFX90A:ACCUM_OFFSET: 2
; COMPUTE_PGM_RSRC3_GFX90A:TG_SPLIT: 0
	.section	.text._Z19reduce_valid_kernelILj1024ELN6hipcub20BlockReduceAlgorithmE2EiEvPT1_S3_j,"axG",@progbits,_Z19reduce_valid_kernelILj1024ELN6hipcub20BlockReduceAlgorithmE2EiEvPT1_S3_j,comdat
	.protected	_Z19reduce_valid_kernelILj1024ELN6hipcub20BlockReduceAlgorithmE2EiEvPT1_S3_j ; -- Begin function _Z19reduce_valid_kernelILj1024ELN6hipcub20BlockReduceAlgorithmE2EiEvPT1_S3_j
	.globl	_Z19reduce_valid_kernelILj1024ELN6hipcub20BlockReduceAlgorithmE2EiEvPT1_S3_j
	.p2align	8
	.type	_Z19reduce_valid_kernelILj1024ELN6hipcub20BlockReduceAlgorithmE2EiEvPT1_S3_j,@function
_Z19reduce_valid_kernelILj1024ELN6hipcub20BlockReduceAlgorithmE2EiEvPT1_S3_j: ; @_Z19reduce_valid_kernelILj1024ELN6hipcub20BlockReduceAlgorithmE2EiEvPT1_S3_j
; %bb.0:
	s_load_dwordx4 s[0:3], s[4:5], 0x0
	s_load_dword s7, s[4:5], 0x10
	v_lshl_or_b32 v2, s6, 10, v0
	v_mov_b32_e32 v3, 0
	v_lshlrev_b64 v[2:3], 2, v[2:3]
	s_waitcnt lgkmcnt(0)
	v_mov_b32_e32 v1, s1
	v_add_co_u32_e32 v2, vcc, s0, v2
	v_addc_co_u32_e32 v3, vcc, v1, v3, vcc
	global_load_dword v1, v[2:3], off
	v_cmp_lt_u32_e32 vcc, 63, v0
	v_cmp_gt_u32_e64 s[0:1], s7, v0
	s_and_b64 s[4:5], vcc, s[0:1]
	s_and_saveexec_b64 s[0:1], s[4:5]
	s_cbranch_execz .LBB47_2
; %bb.1:
	v_lshlrev_b32_e32 v2, 2, v0
	s_waitcnt vmcnt(0)
	ds_write_b32 v2, v1
.LBB47_2:
	s_or_b64 exec, exec, s[0:1]
	v_cmp_gt_u32_e32 vcc, 64, v0
	s_waitcnt lgkmcnt(0)
	s_barrier
	s_and_saveexec_b64 s[4:5], vcc
	s_cbranch_execz .LBB47_16
; %bb.3:
	v_or_b32_e32 v2, 64, v0
	v_cmp_gt_u32_e32 vcc, s7, v2
	s_and_saveexec_b64 s[8:9], vcc
	s_cbranch_execz .LBB47_15
; %bb.4:
	v_sub_u32_e32 v3, s7, v0
	v_add_u32_e32 v3, 0xffffffbf, v3
	s_movk_i32 s0, 0x4c0
	v_cmp_gt_u32_e32 vcc, s0, v3
	s_movk_i32 s0, 0x4bf
	v_cmp_lt_u32_e64 s[0:1], s0, v3
	s_and_saveexec_b64 s[10:11], s[0:1]
	s_cbranch_execz .LBB47_10
; %bb.5:
	v_and_b32_e32 v4, 0xffffffc0, v3
	v_add_u32_e32 v4, v2, v4
	v_cmp_ge_i32_e64 s[0:1], v4, v2
	s_mov_b64 s[14:15], -1
	s_and_saveexec_b64 s[12:13], s[0:1]
	s_cbranch_execz .LBB47_9
; %bb.6:
	v_lshrrev_b32_e32 v3, 6, v3
	v_add_u32_e32 v6, 1, v3
	v_and_b32_e32 v7, 0x7fffffe, v6
	v_add_u32_e32 v3, 64, v2
	s_mov_b64 s[14:15], 0
	v_mov_b32_e32 v8, 0
	v_mov_b32_e32 v9, v7
	v_pk_mov_b32 v[4:5], v[2:3], v[2:3] op_sel:[0,1]
.LBB47_7:                               ; =>This Inner Loop Header: Depth=1
	v_lshlrev_b32_e32 v3, 2, v4
	v_lshlrev_b32_e32 v10, 2, v5
	ds_read_b32 v10, v10
	ds_read_b32 v3, v3
	v_add_u32_e32 v9, -2, v9
	v_cmp_eq_u32_e64 s[0:1], 0, v9
	v_add_u32_e32 v5, 0x80, v5
	v_add_u32_e32 v4, 0x80, v4
	s_or_b64 s[14:15], s[0:1], s[14:15]
	s_waitcnt lgkmcnt(1)
	v_add_u32_e32 v8, v10, v8
	s_waitcnt vmcnt(0) lgkmcnt(0)
	v_add_u32_e32 v1, v3, v1
	s_andn2_b64 exec, exec, s[14:15]
	s_cbranch_execnz .LBB47_7
; %bb.8:
	s_or_b64 exec, exec, s[14:15]
	v_cmp_ne_u32_e64 s[0:1], v6, v7
	v_lshl_or_b32 v2, v7, 6, v2
	v_add_u32_e32 v1, v1, v8
	s_orn2_b64 s[14:15], s[0:1], exec
.LBB47_9:
	s_or_b64 exec, exec, s[12:13]
	s_andn2_b64 s[0:1], vcc, exec
	s_and_b64 s[12:13], s[14:15], exec
	s_or_b64 vcc, s[0:1], s[12:13]
.LBB47_10:
	s_or_b64 exec, exec, s[10:11]
	s_and_saveexec_b64 s[0:1], vcc
	s_cbranch_execz .LBB47_14
; %bb.11:
	v_lshlrev_b32_e32 v3, 2, v2
	s_mov_b64 s[10:11], 0
.LBB47_12:                              ; =>This Inner Loop Header: Depth=1
	ds_read_b32 v4, v3
	v_add_u32_e32 v2, 64, v2
	v_cmp_le_u32_e32 vcc, s7, v2
	v_add_u32_e32 v3, 0x100, v3
	s_or_b64 s[10:11], vcc, s[10:11]
	s_waitcnt vmcnt(0) lgkmcnt(0)
	v_add_u32_e32 v1, v4, v1
	s_andn2_b64 exec, exec, s[10:11]
	s_cbranch_execnz .LBB47_12
; %bb.13:
	s_or_b64 exec, exec, s[10:11]
.LBB47_14:
	s_or_b64 exec, exec, s[0:1]
.LBB47_15:
	s_or_b64 exec, exec, s[8:9]
	v_mbcnt_lo_u32_b32 v2, -1, 0
	v_mbcnt_hi_u32_b32 v2, -1, v2
	v_and_b32_e32 v3, 63, v2
	v_cmp_ne_u32_e32 vcc, 63, v3
	v_addc_co_u32_e32 v4, vcc, 0, v2, vcc
	v_lshlrev_b32_e32 v4, 2, v4
	s_waitcnt vmcnt(0)
	ds_bpermute_b32 v4, v4, v1
	v_add_u32_e32 v5, 1, v2
	v_cmp_gt_u32_e32 vcc, s7, v5
	v_add_u32_e32 v5, 2, v2
	s_waitcnt lgkmcnt(0)
	v_cndmask_b32_e32 v4, 0, v4, vcc
	v_cmp_gt_u32_e32 vcc, 62, v3
	v_add_u32_e32 v1, v4, v1
	v_cndmask_b32_e64 v4, 0, 1, vcc
	v_lshlrev_b32_e32 v4, 1, v4
	v_add_lshl_u32 v4, v4, v2, 2
	ds_bpermute_b32 v4, v4, v1
	v_cmp_gt_u32_e32 vcc, s7, v5
	v_add_u32_e32 v5, 4, v2
	s_waitcnt lgkmcnt(0)
	v_cndmask_b32_e32 v4, 0, v4, vcc
	v_cmp_gt_u32_e32 vcc, 60, v3
	v_add_u32_e32 v1, v1, v4
	v_cndmask_b32_e64 v4, 0, 1, vcc
	v_lshlrev_b32_e32 v4, 2, v4
	v_add_lshl_u32 v4, v4, v2, 2
	ds_bpermute_b32 v4, v4, v1
	;; [unrolled: 10-line block ×4, first 2 shown]
	v_cmp_gt_u32_e32 vcc, s7, v5
	s_waitcnt lgkmcnt(0)
	v_cndmask_b32_e32 v4, 0, v4, vcc
	v_cmp_gt_u32_e32 vcc, 32, v3
	v_cndmask_b32_e64 v3, 0, 1, vcc
	v_lshlrev_b32_e32 v3, 5, v3
	v_add_u32_e32 v1, v1, v4
	v_add_lshl_u32 v3, v3, v2, 2
	ds_bpermute_b32 v3, v3, v1
	v_add_u32_e32 v2, 32, v2
	v_cmp_gt_u32_e32 vcc, s7, v2
	s_waitcnt lgkmcnt(0)
	v_cndmask_b32_e32 v2, 0, v3, vcc
	v_add_u32_e32 v1, v1, v2
.LBB47_16:
	s_or_b64 exec, exec, s[4:5]
	s_mov_b32 s7, 0
	v_cmp_eq_u32_e32 vcc, 0, v0
	s_and_saveexec_b64 s[0:1], vcc
	s_cbranch_execz .LBB47_18
; %bb.17:
	s_lshl_b64 s[0:1], s[6:7], 2
	s_add_u32 s0, s2, s0
	s_addc_u32 s1, s3, s1
	v_mov_b32_e32 v0, 0
	s_waitcnt vmcnt(0)
	global_store_dword v0, v1, s[0:1]
.LBB47_18:
	s_endpgm
	.section	.rodata,"a",@progbits
	.p2align	6, 0x0
	.amdhsa_kernel _Z19reduce_valid_kernelILj1024ELN6hipcub20BlockReduceAlgorithmE2EiEvPT1_S3_j
		.amdhsa_group_segment_fixed_size 4096
		.amdhsa_private_segment_fixed_size 0
		.amdhsa_kernarg_size 20
		.amdhsa_user_sgpr_count 6
		.amdhsa_user_sgpr_private_segment_buffer 1
		.amdhsa_user_sgpr_dispatch_ptr 0
		.amdhsa_user_sgpr_queue_ptr 0
		.amdhsa_user_sgpr_kernarg_segment_ptr 1
		.amdhsa_user_sgpr_dispatch_id 0
		.amdhsa_user_sgpr_flat_scratch_init 0
		.amdhsa_user_sgpr_kernarg_preload_length 0
		.amdhsa_user_sgpr_kernarg_preload_offset 0
		.amdhsa_user_sgpr_private_segment_size 0
		.amdhsa_uses_dynamic_stack 0
		.amdhsa_system_sgpr_private_segment_wavefront_offset 0
		.amdhsa_system_sgpr_workgroup_id_x 1
		.amdhsa_system_sgpr_workgroup_id_y 0
		.amdhsa_system_sgpr_workgroup_id_z 0
		.amdhsa_system_sgpr_workgroup_info 0
		.amdhsa_system_vgpr_workitem_id 0
		.amdhsa_next_free_vgpr 11
		.amdhsa_next_free_sgpr 16
		.amdhsa_accum_offset 12
		.amdhsa_reserve_vcc 1
		.amdhsa_reserve_flat_scratch 0
		.amdhsa_float_round_mode_32 0
		.amdhsa_float_round_mode_16_64 0
		.amdhsa_float_denorm_mode_32 3
		.amdhsa_float_denorm_mode_16_64 3
		.amdhsa_dx10_clamp 1
		.amdhsa_ieee_mode 1
		.amdhsa_fp16_overflow 0
		.amdhsa_tg_split 0
		.amdhsa_exception_fp_ieee_invalid_op 0
		.amdhsa_exception_fp_denorm_src 0
		.amdhsa_exception_fp_ieee_div_zero 0
		.amdhsa_exception_fp_ieee_overflow 0
		.amdhsa_exception_fp_ieee_underflow 0
		.amdhsa_exception_fp_ieee_inexact 0
		.amdhsa_exception_int_div_zero 0
	.end_amdhsa_kernel
	.section	.text._Z19reduce_valid_kernelILj1024ELN6hipcub20BlockReduceAlgorithmE2EiEvPT1_S3_j,"axG",@progbits,_Z19reduce_valid_kernelILj1024ELN6hipcub20BlockReduceAlgorithmE2EiEvPT1_S3_j,comdat
.Lfunc_end47:
	.size	_Z19reduce_valid_kernelILj1024ELN6hipcub20BlockReduceAlgorithmE2EiEvPT1_S3_j, .Lfunc_end47-_Z19reduce_valid_kernelILj1024ELN6hipcub20BlockReduceAlgorithmE2EiEvPT1_S3_j
                                        ; -- End function
	.section	.AMDGPU.csdata,"",@progbits
; Kernel info:
; codeLenInByte = 828
; NumSgprs: 20
; NumVgprs: 11
; NumAgprs: 0
; TotalNumVgprs: 11
; ScratchSize: 0
; MemoryBound: 0
; FloatMode: 240
; IeeeMode: 1
; LDSByteSize: 4096 bytes/workgroup (compile time only)
; SGPRBlocks: 2
; VGPRBlocks: 1
; NumSGPRsForWavesPerEU: 20
; NumVGPRsForWavesPerEU: 11
; AccumOffset: 12
; Occupancy: 8
; WaveLimiterHint : 0
; COMPUTE_PGM_RSRC2:SCRATCH_EN: 0
; COMPUTE_PGM_RSRC2:USER_SGPR: 6
; COMPUTE_PGM_RSRC2:TRAP_HANDLER: 0
; COMPUTE_PGM_RSRC2:TGID_X_EN: 1
; COMPUTE_PGM_RSRC2:TGID_Y_EN: 0
; COMPUTE_PGM_RSRC2:TGID_Z_EN: 0
; COMPUTE_PGM_RSRC2:TIDIG_COMP_CNT: 0
; COMPUTE_PGM_RSRC3_GFX90A:ACCUM_OFFSET: 2
; COMPUTE_PGM_RSRC3_GFX90A:TG_SPLIT: 0
	.section	.text._Z19reduce_valid_kernelILj512ELN6hipcub20BlockReduceAlgorithmE2EiEvPT1_S3_j,"axG",@progbits,_Z19reduce_valid_kernelILj512ELN6hipcub20BlockReduceAlgorithmE2EiEvPT1_S3_j,comdat
	.protected	_Z19reduce_valid_kernelILj512ELN6hipcub20BlockReduceAlgorithmE2EiEvPT1_S3_j ; -- Begin function _Z19reduce_valid_kernelILj512ELN6hipcub20BlockReduceAlgorithmE2EiEvPT1_S3_j
	.globl	_Z19reduce_valid_kernelILj512ELN6hipcub20BlockReduceAlgorithmE2EiEvPT1_S3_j
	.p2align	8
	.type	_Z19reduce_valid_kernelILj512ELN6hipcub20BlockReduceAlgorithmE2EiEvPT1_S3_j,@function
_Z19reduce_valid_kernelILj512ELN6hipcub20BlockReduceAlgorithmE2EiEvPT1_S3_j: ; @_Z19reduce_valid_kernelILj512ELN6hipcub20BlockReduceAlgorithmE2EiEvPT1_S3_j
; %bb.0:
	s_load_dwordx4 s[0:3], s[4:5], 0x0
	s_load_dword s7, s[4:5], 0x10
	v_lshl_or_b32 v2, s6, 9, v0
	v_mov_b32_e32 v3, 0
	v_lshlrev_b64 v[2:3], 2, v[2:3]
	s_waitcnt lgkmcnt(0)
	v_mov_b32_e32 v1, s1
	v_add_co_u32_e32 v2, vcc, s0, v2
	v_addc_co_u32_e32 v3, vcc, v1, v3, vcc
	global_load_dword v1, v[2:3], off
	v_cmp_lt_u32_e32 vcc, 63, v0
	v_cmp_gt_u32_e64 s[0:1], s7, v0
	s_and_b64 s[4:5], vcc, s[0:1]
	s_and_saveexec_b64 s[0:1], s[4:5]
	s_cbranch_execz .LBB48_2
; %bb.1:
	v_lshlrev_b32_e32 v2, 2, v0
	s_waitcnt vmcnt(0)
	ds_write_b32 v2, v1
.LBB48_2:
	s_or_b64 exec, exec, s[0:1]
	v_cmp_gt_u32_e32 vcc, 64, v0
	s_waitcnt lgkmcnt(0)
	s_barrier
	s_and_saveexec_b64 s[4:5], vcc
	s_cbranch_execz .LBB48_16
; %bb.3:
	v_or_b32_e32 v2, 64, v0
	v_cmp_gt_u32_e32 vcc, s7, v2
	s_and_saveexec_b64 s[8:9], vcc
	s_cbranch_execz .LBB48_15
; %bb.4:
	v_sub_u32_e32 v3, s7, v0
	v_add_u32_e32 v3, 0xffffffbf, v3
	s_movk_i32 s0, 0x4c0
	v_cmp_gt_u32_e32 vcc, s0, v3
	s_movk_i32 s0, 0x4bf
	v_cmp_lt_u32_e64 s[0:1], s0, v3
	s_and_saveexec_b64 s[10:11], s[0:1]
	s_cbranch_execz .LBB48_10
; %bb.5:
	v_and_b32_e32 v4, 0xffffffc0, v3
	v_add_u32_e32 v4, v2, v4
	v_cmp_ge_i32_e64 s[0:1], v4, v2
	s_mov_b64 s[14:15], -1
	s_and_saveexec_b64 s[12:13], s[0:1]
	s_cbranch_execz .LBB48_9
; %bb.6:
	v_lshrrev_b32_e32 v3, 6, v3
	v_add_u32_e32 v6, 1, v3
	v_and_b32_e32 v7, 0x7fffffe, v6
	v_add_u32_e32 v3, 64, v2
	s_mov_b64 s[14:15], 0
	v_mov_b32_e32 v8, 0
	v_mov_b32_e32 v9, v7
	v_pk_mov_b32 v[4:5], v[2:3], v[2:3] op_sel:[0,1]
.LBB48_7:                               ; =>This Inner Loop Header: Depth=1
	v_lshlrev_b32_e32 v3, 2, v4
	v_lshlrev_b32_e32 v10, 2, v5
	ds_read_b32 v10, v10
	ds_read_b32 v3, v3
	v_add_u32_e32 v9, -2, v9
	v_cmp_eq_u32_e64 s[0:1], 0, v9
	v_add_u32_e32 v5, 0x80, v5
	v_add_u32_e32 v4, 0x80, v4
	s_or_b64 s[14:15], s[0:1], s[14:15]
	s_waitcnt lgkmcnt(1)
	v_add_u32_e32 v8, v10, v8
	s_waitcnt vmcnt(0) lgkmcnt(0)
	v_add_u32_e32 v1, v3, v1
	s_andn2_b64 exec, exec, s[14:15]
	s_cbranch_execnz .LBB48_7
; %bb.8:
	s_or_b64 exec, exec, s[14:15]
	v_cmp_ne_u32_e64 s[0:1], v6, v7
	v_lshl_or_b32 v2, v7, 6, v2
	v_add_u32_e32 v1, v1, v8
	s_orn2_b64 s[14:15], s[0:1], exec
.LBB48_9:
	s_or_b64 exec, exec, s[12:13]
	s_andn2_b64 s[0:1], vcc, exec
	s_and_b64 s[12:13], s[14:15], exec
	s_or_b64 vcc, s[0:1], s[12:13]
.LBB48_10:
	s_or_b64 exec, exec, s[10:11]
	s_and_saveexec_b64 s[0:1], vcc
	s_cbranch_execz .LBB48_14
; %bb.11:
	v_lshlrev_b32_e32 v3, 2, v2
	s_mov_b64 s[10:11], 0
.LBB48_12:                              ; =>This Inner Loop Header: Depth=1
	ds_read_b32 v4, v3
	v_add_u32_e32 v2, 64, v2
	v_cmp_le_u32_e32 vcc, s7, v2
	v_add_u32_e32 v3, 0x100, v3
	s_or_b64 s[10:11], vcc, s[10:11]
	s_waitcnt vmcnt(0) lgkmcnt(0)
	v_add_u32_e32 v1, v4, v1
	s_andn2_b64 exec, exec, s[10:11]
	s_cbranch_execnz .LBB48_12
; %bb.13:
	s_or_b64 exec, exec, s[10:11]
.LBB48_14:
	s_or_b64 exec, exec, s[0:1]
.LBB48_15:
	s_or_b64 exec, exec, s[8:9]
	v_mbcnt_lo_u32_b32 v2, -1, 0
	v_mbcnt_hi_u32_b32 v2, -1, v2
	v_and_b32_e32 v3, 63, v2
	v_cmp_ne_u32_e32 vcc, 63, v3
	v_addc_co_u32_e32 v4, vcc, 0, v2, vcc
	v_lshlrev_b32_e32 v4, 2, v4
	s_waitcnt vmcnt(0)
	ds_bpermute_b32 v4, v4, v1
	v_add_u32_e32 v5, 1, v2
	v_cmp_gt_u32_e32 vcc, s7, v5
	v_add_u32_e32 v5, 2, v2
	s_waitcnt lgkmcnt(0)
	v_cndmask_b32_e32 v4, 0, v4, vcc
	v_cmp_gt_u32_e32 vcc, 62, v3
	v_add_u32_e32 v1, v4, v1
	v_cndmask_b32_e64 v4, 0, 1, vcc
	v_lshlrev_b32_e32 v4, 1, v4
	v_add_lshl_u32 v4, v4, v2, 2
	ds_bpermute_b32 v4, v4, v1
	v_cmp_gt_u32_e32 vcc, s7, v5
	v_add_u32_e32 v5, 4, v2
	s_waitcnt lgkmcnt(0)
	v_cndmask_b32_e32 v4, 0, v4, vcc
	v_cmp_gt_u32_e32 vcc, 60, v3
	v_add_u32_e32 v1, v1, v4
	v_cndmask_b32_e64 v4, 0, 1, vcc
	v_lshlrev_b32_e32 v4, 2, v4
	v_add_lshl_u32 v4, v4, v2, 2
	ds_bpermute_b32 v4, v4, v1
	;; [unrolled: 10-line block ×4, first 2 shown]
	v_cmp_gt_u32_e32 vcc, s7, v5
	s_waitcnt lgkmcnt(0)
	v_cndmask_b32_e32 v4, 0, v4, vcc
	v_cmp_gt_u32_e32 vcc, 32, v3
	v_cndmask_b32_e64 v3, 0, 1, vcc
	v_lshlrev_b32_e32 v3, 5, v3
	v_add_u32_e32 v1, v1, v4
	v_add_lshl_u32 v3, v3, v2, 2
	ds_bpermute_b32 v3, v3, v1
	v_add_u32_e32 v2, 32, v2
	v_cmp_gt_u32_e32 vcc, s7, v2
	s_waitcnt lgkmcnt(0)
	v_cndmask_b32_e32 v2, 0, v3, vcc
	v_add_u32_e32 v1, v1, v2
.LBB48_16:
	s_or_b64 exec, exec, s[4:5]
	s_mov_b32 s7, 0
	v_cmp_eq_u32_e32 vcc, 0, v0
	s_and_saveexec_b64 s[0:1], vcc
	s_cbranch_execz .LBB48_18
; %bb.17:
	s_lshl_b64 s[0:1], s[6:7], 2
	s_add_u32 s0, s2, s0
	s_addc_u32 s1, s3, s1
	v_mov_b32_e32 v0, 0
	s_waitcnt vmcnt(0)
	global_store_dword v0, v1, s[0:1]
.LBB48_18:
	s_endpgm
	.section	.rodata,"a",@progbits
	.p2align	6, 0x0
	.amdhsa_kernel _Z19reduce_valid_kernelILj512ELN6hipcub20BlockReduceAlgorithmE2EiEvPT1_S3_j
		.amdhsa_group_segment_fixed_size 2048
		.amdhsa_private_segment_fixed_size 0
		.amdhsa_kernarg_size 20
		.amdhsa_user_sgpr_count 6
		.amdhsa_user_sgpr_private_segment_buffer 1
		.amdhsa_user_sgpr_dispatch_ptr 0
		.amdhsa_user_sgpr_queue_ptr 0
		.amdhsa_user_sgpr_kernarg_segment_ptr 1
		.amdhsa_user_sgpr_dispatch_id 0
		.amdhsa_user_sgpr_flat_scratch_init 0
		.amdhsa_user_sgpr_kernarg_preload_length 0
		.amdhsa_user_sgpr_kernarg_preload_offset 0
		.amdhsa_user_sgpr_private_segment_size 0
		.amdhsa_uses_dynamic_stack 0
		.amdhsa_system_sgpr_private_segment_wavefront_offset 0
		.amdhsa_system_sgpr_workgroup_id_x 1
		.amdhsa_system_sgpr_workgroup_id_y 0
		.amdhsa_system_sgpr_workgroup_id_z 0
		.amdhsa_system_sgpr_workgroup_info 0
		.amdhsa_system_vgpr_workitem_id 0
		.amdhsa_next_free_vgpr 11
		.amdhsa_next_free_sgpr 16
		.amdhsa_accum_offset 12
		.amdhsa_reserve_vcc 1
		.amdhsa_reserve_flat_scratch 0
		.amdhsa_float_round_mode_32 0
		.amdhsa_float_round_mode_16_64 0
		.amdhsa_float_denorm_mode_32 3
		.amdhsa_float_denorm_mode_16_64 3
		.amdhsa_dx10_clamp 1
		.amdhsa_ieee_mode 1
		.amdhsa_fp16_overflow 0
		.amdhsa_tg_split 0
		.amdhsa_exception_fp_ieee_invalid_op 0
		.amdhsa_exception_fp_denorm_src 0
		.amdhsa_exception_fp_ieee_div_zero 0
		.amdhsa_exception_fp_ieee_overflow 0
		.amdhsa_exception_fp_ieee_underflow 0
		.amdhsa_exception_fp_ieee_inexact 0
		.amdhsa_exception_int_div_zero 0
	.end_amdhsa_kernel
	.section	.text._Z19reduce_valid_kernelILj512ELN6hipcub20BlockReduceAlgorithmE2EiEvPT1_S3_j,"axG",@progbits,_Z19reduce_valid_kernelILj512ELN6hipcub20BlockReduceAlgorithmE2EiEvPT1_S3_j,comdat
.Lfunc_end48:
	.size	_Z19reduce_valid_kernelILj512ELN6hipcub20BlockReduceAlgorithmE2EiEvPT1_S3_j, .Lfunc_end48-_Z19reduce_valid_kernelILj512ELN6hipcub20BlockReduceAlgorithmE2EiEvPT1_S3_j
                                        ; -- End function
	.section	.AMDGPU.csdata,"",@progbits
; Kernel info:
; codeLenInByte = 828
; NumSgprs: 20
; NumVgprs: 11
; NumAgprs: 0
; TotalNumVgprs: 11
; ScratchSize: 0
; MemoryBound: 0
; FloatMode: 240
; IeeeMode: 1
; LDSByteSize: 2048 bytes/workgroup (compile time only)
; SGPRBlocks: 2
; VGPRBlocks: 1
; NumSGPRsForWavesPerEU: 20
; NumVGPRsForWavesPerEU: 11
; AccumOffset: 12
; Occupancy: 8
; WaveLimiterHint : 0
; COMPUTE_PGM_RSRC2:SCRATCH_EN: 0
; COMPUTE_PGM_RSRC2:USER_SGPR: 6
; COMPUTE_PGM_RSRC2:TRAP_HANDLER: 0
; COMPUTE_PGM_RSRC2:TGID_X_EN: 1
; COMPUTE_PGM_RSRC2:TGID_Y_EN: 0
; COMPUTE_PGM_RSRC2:TGID_Z_EN: 0
; COMPUTE_PGM_RSRC2:TIDIG_COMP_CNT: 0
; COMPUTE_PGM_RSRC3_GFX90A:ACCUM_OFFSET: 2
; COMPUTE_PGM_RSRC3_GFX90A:TG_SPLIT: 0
	.section	.text._Z19reduce_valid_kernelILj256ELN6hipcub20BlockReduceAlgorithmE2EiEvPT1_S3_j,"axG",@progbits,_Z19reduce_valid_kernelILj256ELN6hipcub20BlockReduceAlgorithmE2EiEvPT1_S3_j,comdat
	.protected	_Z19reduce_valid_kernelILj256ELN6hipcub20BlockReduceAlgorithmE2EiEvPT1_S3_j ; -- Begin function _Z19reduce_valid_kernelILj256ELN6hipcub20BlockReduceAlgorithmE2EiEvPT1_S3_j
	.globl	_Z19reduce_valid_kernelILj256ELN6hipcub20BlockReduceAlgorithmE2EiEvPT1_S3_j
	.p2align	8
	.type	_Z19reduce_valid_kernelILj256ELN6hipcub20BlockReduceAlgorithmE2EiEvPT1_S3_j,@function
_Z19reduce_valid_kernelILj256ELN6hipcub20BlockReduceAlgorithmE2EiEvPT1_S3_j: ; @_Z19reduce_valid_kernelILj256ELN6hipcub20BlockReduceAlgorithmE2EiEvPT1_S3_j
; %bb.0:
	s_load_dwordx4 s[0:3], s[4:5], 0x0
	s_load_dword s7, s[4:5], 0x10
	v_lshl_or_b32 v2, s6, 8, v0
	v_mov_b32_e32 v3, 0
	v_lshlrev_b64 v[2:3], 2, v[2:3]
	s_waitcnt lgkmcnt(0)
	v_mov_b32_e32 v1, s1
	v_add_co_u32_e32 v2, vcc, s0, v2
	v_addc_co_u32_e32 v3, vcc, v1, v3, vcc
	global_load_dword v1, v[2:3], off
	v_cmp_lt_u32_e32 vcc, 63, v0
	v_cmp_gt_u32_e64 s[0:1], s7, v0
	s_and_b64 s[4:5], vcc, s[0:1]
	s_and_saveexec_b64 s[0:1], s[4:5]
	s_cbranch_execz .LBB49_2
; %bb.1:
	v_lshlrev_b32_e32 v2, 2, v0
	s_waitcnt vmcnt(0)
	ds_write_b32 v2, v1
.LBB49_2:
	s_or_b64 exec, exec, s[0:1]
	v_cmp_gt_u32_e32 vcc, 64, v0
	s_waitcnt lgkmcnt(0)
	s_barrier
	s_and_saveexec_b64 s[4:5], vcc
	s_cbranch_execz .LBB49_16
; %bb.3:
	v_or_b32_e32 v2, 64, v0
	v_cmp_gt_u32_e32 vcc, s7, v2
	s_and_saveexec_b64 s[8:9], vcc
	s_cbranch_execz .LBB49_15
; %bb.4:
	v_sub_u32_e32 v3, s7, v0
	v_add_u32_e32 v3, 0xffffffbf, v3
	s_movk_i32 s0, 0x4c0
	v_cmp_gt_u32_e32 vcc, s0, v3
	s_movk_i32 s0, 0x4bf
	v_cmp_lt_u32_e64 s[0:1], s0, v3
	s_and_saveexec_b64 s[10:11], s[0:1]
	s_cbranch_execz .LBB49_10
; %bb.5:
	v_and_b32_e32 v4, 0xffffffc0, v3
	v_add_u32_e32 v4, v2, v4
	v_cmp_ge_i32_e64 s[0:1], v4, v2
	s_mov_b64 s[14:15], -1
	s_and_saveexec_b64 s[12:13], s[0:1]
	s_cbranch_execz .LBB49_9
; %bb.6:
	v_lshrrev_b32_e32 v3, 6, v3
	v_add_u32_e32 v6, 1, v3
	v_and_b32_e32 v7, 0x7fffffe, v6
	v_add_u32_e32 v3, 64, v2
	s_mov_b64 s[14:15], 0
	v_mov_b32_e32 v8, 0
	v_mov_b32_e32 v9, v7
	v_pk_mov_b32 v[4:5], v[2:3], v[2:3] op_sel:[0,1]
.LBB49_7:                               ; =>This Inner Loop Header: Depth=1
	v_lshlrev_b32_e32 v3, 2, v4
	v_lshlrev_b32_e32 v10, 2, v5
	ds_read_b32 v10, v10
	ds_read_b32 v3, v3
	v_add_u32_e32 v9, -2, v9
	v_cmp_eq_u32_e64 s[0:1], 0, v9
	v_add_u32_e32 v5, 0x80, v5
	v_add_u32_e32 v4, 0x80, v4
	s_or_b64 s[14:15], s[0:1], s[14:15]
	s_waitcnt lgkmcnt(1)
	v_add_u32_e32 v8, v10, v8
	s_waitcnt vmcnt(0) lgkmcnt(0)
	v_add_u32_e32 v1, v3, v1
	s_andn2_b64 exec, exec, s[14:15]
	s_cbranch_execnz .LBB49_7
; %bb.8:
	s_or_b64 exec, exec, s[14:15]
	v_cmp_ne_u32_e64 s[0:1], v6, v7
	v_lshl_or_b32 v2, v7, 6, v2
	v_add_u32_e32 v1, v1, v8
	s_orn2_b64 s[14:15], s[0:1], exec
.LBB49_9:
	s_or_b64 exec, exec, s[12:13]
	s_andn2_b64 s[0:1], vcc, exec
	s_and_b64 s[12:13], s[14:15], exec
	s_or_b64 vcc, s[0:1], s[12:13]
.LBB49_10:
	s_or_b64 exec, exec, s[10:11]
	s_and_saveexec_b64 s[0:1], vcc
	s_cbranch_execz .LBB49_14
; %bb.11:
	v_lshlrev_b32_e32 v3, 2, v2
	s_mov_b64 s[10:11], 0
.LBB49_12:                              ; =>This Inner Loop Header: Depth=1
	ds_read_b32 v4, v3
	v_add_u32_e32 v2, 64, v2
	v_cmp_le_u32_e32 vcc, s7, v2
	v_add_u32_e32 v3, 0x100, v3
	s_or_b64 s[10:11], vcc, s[10:11]
	s_waitcnt vmcnt(0) lgkmcnt(0)
	v_add_u32_e32 v1, v4, v1
	s_andn2_b64 exec, exec, s[10:11]
	s_cbranch_execnz .LBB49_12
; %bb.13:
	s_or_b64 exec, exec, s[10:11]
.LBB49_14:
	s_or_b64 exec, exec, s[0:1]
.LBB49_15:
	s_or_b64 exec, exec, s[8:9]
	v_mbcnt_lo_u32_b32 v2, -1, 0
	v_mbcnt_hi_u32_b32 v2, -1, v2
	v_and_b32_e32 v3, 63, v2
	v_cmp_ne_u32_e32 vcc, 63, v3
	v_addc_co_u32_e32 v4, vcc, 0, v2, vcc
	v_lshlrev_b32_e32 v4, 2, v4
	s_waitcnt vmcnt(0)
	ds_bpermute_b32 v4, v4, v1
	v_add_u32_e32 v5, 1, v2
	v_cmp_gt_u32_e32 vcc, s7, v5
	v_add_u32_e32 v5, 2, v2
	s_waitcnt lgkmcnt(0)
	v_cndmask_b32_e32 v4, 0, v4, vcc
	v_cmp_gt_u32_e32 vcc, 62, v3
	v_add_u32_e32 v1, v4, v1
	v_cndmask_b32_e64 v4, 0, 1, vcc
	v_lshlrev_b32_e32 v4, 1, v4
	v_add_lshl_u32 v4, v4, v2, 2
	ds_bpermute_b32 v4, v4, v1
	v_cmp_gt_u32_e32 vcc, s7, v5
	v_add_u32_e32 v5, 4, v2
	s_waitcnt lgkmcnt(0)
	v_cndmask_b32_e32 v4, 0, v4, vcc
	v_cmp_gt_u32_e32 vcc, 60, v3
	v_add_u32_e32 v1, v1, v4
	v_cndmask_b32_e64 v4, 0, 1, vcc
	v_lshlrev_b32_e32 v4, 2, v4
	v_add_lshl_u32 v4, v4, v2, 2
	ds_bpermute_b32 v4, v4, v1
	;; [unrolled: 10-line block ×4, first 2 shown]
	v_cmp_gt_u32_e32 vcc, s7, v5
	s_waitcnt lgkmcnt(0)
	v_cndmask_b32_e32 v4, 0, v4, vcc
	v_cmp_gt_u32_e32 vcc, 32, v3
	v_cndmask_b32_e64 v3, 0, 1, vcc
	v_lshlrev_b32_e32 v3, 5, v3
	v_add_u32_e32 v1, v1, v4
	v_add_lshl_u32 v3, v3, v2, 2
	ds_bpermute_b32 v3, v3, v1
	v_add_u32_e32 v2, 32, v2
	v_cmp_gt_u32_e32 vcc, s7, v2
	s_waitcnt lgkmcnt(0)
	v_cndmask_b32_e32 v2, 0, v3, vcc
	v_add_u32_e32 v1, v1, v2
.LBB49_16:
	s_or_b64 exec, exec, s[4:5]
	s_mov_b32 s7, 0
	v_cmp_eq_u32_e32 vcc, 0, v0
	s_and_saveexec_b64 s[0:1], vcc
	s_cbranch_execz .LBB49_18
; %bb.17:
	s_lshl_b64 s[0:1], s[6:7], 2
	s_add_u32 s0, s2, s0
	s_addc_u32 s1, s3, s1
	v_mov_b32_e32 v0, 0
	s_waitcnt vmcnt(0)
	global_store_dword v0, v1, s[0:1]
.LBB49_18:
	s_endpgm
	.section	.rodata,"a",@progbits
	.p2align	6, 0x0
	.amdhsa_kernel _Z19reduce_valid_kernelILj256ELN6hipcub20BlockReduceAlgorithmE2EiEvPT1_S3_j
		.amdhsa_group_segment_fixed_size 1024
		.amdhsa_private_segment_fixed_size 0
		.amdhsa_kernarg_size 20
		.amdhsa_user_sgpr_count 6
		.amdhsa_user_sgpr_private_segment_buffer 1
		.amdhsa_user_sgpr_dispatch_ptr 0
		.amdhsa_user_sgpr_queue_ptr 0
		.amdhsa_user_sgpr_kernarg_segment_ptr 1
		.amdhsa_user_sgpr_dispatch_id 0
		.amdhsa_user_sgpr_flat_scratch_init 0
		.amdhsa_user_sgpr_kernarg_preload_length 0
		.amdhsa_user_sgpr_kernarg_preload_offset 0
		.amdhsa_user_sgpr_private_segment_size 0
		.amdhsa_uses_dynamic_stack 0
		.amdhsa_system_sgpr_private_segment_wavefront_offset 0
		.amdhsa_system_sgpr_workgroup_id_x 1
		.amdhsa_system_sgpr_workgroup_id_y 0
		.amdhsa_system_sgpr_workgroup_id_z 0
		.amdhsa_system_sgpr_workgroup_info 0
		.amdhsa_system_vgpr_workitem_id 0
		.amdhsa_next_free_vgpr 11
		.amdhsa_next_free_sgpr 16
		.amdhsa_accum_offset 12
		.amdhsa_reserve_vcc 1
		.amdhsa_reserve_flat_scratch 0
		.amdhsa_float_round_mode_32 0
		.amdhsa_float_round_mode_16_64 0
		.amdhsa_float_denorm_mode_32 3
		.amdhsa_float_denorm_mode_16_64 3
		.amdhsa_dx10_clamp 1
		.amdhsa_ieee_mode 1
		.amdhsa_fp16_overflow 0
		.amdhsa_tg_split 0
		.amdhsa_exception_fp_ieee_invalid_op 0
		.amdhsa_exception_fp_denorm_src 0
		.amdhsa_exception_fp_ieee_div_zero 0
		.amdhsa_exception_fp_ieee_overflow 0
		.amdhsa_exception_fp_ieee_underflow 0
		.amdhsa_exception_fp_ieee_inexact 0
		.amdhsa_exception_int_div_zero 0
	.end_amdhsa_kernel
	.section	.text._Z19reduce_valid_kernelILj256ELN6hipcub20BlockReduceAlgorithmE2EiEvPT1_S3_j,"axG",@progbits,_Z19reduce_valid_kernelILj256ELN6hipcub20BlockReduceAlgorithmE2EiEvPT1_S3_j,comdat
.Lfunc_end49:
	.size	_Z19reduce_valid_kernelILj256ELN6hipcub20BlockReduceAlgorithmE2EiEvPT1_S3_j, .Lfunc_end49-_Z19reduce_valid_kernelILj256ELN6hipcub20BlockReduceAlgorithmE2EiEvPT1_S3_j
                                        ; -- End function
	.section	.AMDGPU.csdata,"",@progbits
; Kernel info:
; codeLenInByte = 828
; NumSgprs: 20
; NumVgprs: 11
; NumAgprs: 0
; TotalNumVgprs: 11
; ScratchSize: 0
; MemoryBound: 0
; FloatMode: 240
; IeeeMode: 1
; LDSByteSize: 1024 bytes/workgroup (compile time only)
; SGPRBlocks: 2
; VGPRBlocks: 1
; NumSGPRsForWavesPerEU: 20
; NumVGPRsForWavesPerEU: 11
; AccumOffset: 12
; Occupancy: 8
; WaveLimiterHint : 0
; COMPUTE_PGM_RSRC2:SCRATCH_EN: 0
; COMPUTE_PGM_RSRC2:USER_SGPR: 6
; COMPUTE_PGM_RSRC2:TRAP_HANDLER: 0
; COMPUTE_PGM_RSRC2:TGID_X_EN: 1
; COMPUTE_PGM_RSRC2:TGID_Y_EN: 0
; COMPUTE_PGM_RSRC2:TGID_Z_EN: 0
; COMPUTE_PGM_RSRC2:TIDIG_COMP_CNT: 0
; COMPUTE_PGM_RSRC3_GFX90A:ACCUM_OFFSET: 2
; COMPUTE_PGM_RSRC3_GFX90A:TG_SPLIT: 0
	.section	.text._Z19reduce_valid_kernelILj192ELN6hipcub20BlockReduceAlgorithmE2EiEvPT1_S3_j,"axG",@progbits,_Z19reduce_valid_kernelILj192ELN6hipcub20BlockReduceAlgorithmE2EiEvPT1_S3_j,comdat
	.protected	_Z19reduce_valid_kernelILj192ELN6hipcub20BlockReduceAlgorithmE2EiEvPT1_S3_j ; -- Begin function _Z19reduce_valid_kernelILj192ELN6hipcub20BlockReduceAlgorithmE2EiEvPT1_S3_j
	.globl	_Z19reduce_valid_kernelILj192ELN6hipcub20BlockReduceAlgorithmE2EiEvPT1_S3_j
	.p2align	8
	.type	_Z19reduce_valid_kernelILj192ELN6hipcub20BlockReduceAlgorithmE2EiEvPT1_S3_j,@function
_Z19reduce_valid_kernelILj192ELN6hipcub20BlockReduceAlgorithmE2EiEvPT1_S3_j: ; @_Z19reduce_valid_kernelILj192ELN6hipcub20BlockReduceAlgorithmE2EiEvPT1_S3_j
; %bb.0:
	s_load_dwordx4 s[0:3], s[4:5], 0x0
	s_load_dword s7, s[4:5], 0x10
	s_mul_i32 s4, s6, 0xc0
	v_add_u32_e32 v2, s4, v0
	v_mov_b32_e32 v3, 0
	v_lshlrev_b64 v[2:3], 2, v[2:3]
	s_waitcnt lgkmcnt(0)
	v_mov_b32_e32 v1, s1
	v_add_co_u32_e32 v2, vcc, s0, v2
	v_addc_co_u32_e32 v3, vcc, v1, v3, vcc
	global_load_dword v1, v[2:3], off
	v_cmp_lt_u32_e32 vcc, 63, v0
	v_cmp_gt_u32_e64 s[0:1], s7, v0
	s_and_b64 s[4:5], vcc, s[0:1]
	s_and_saveexec_b64 s[0:1], s[4:5]
	s_cbranch_execz .LBB50_2
; %bb.1:
	v_lshlrev_b32_e32 v2, 2, v0
	s_waitcnt vmcnt(0)
	ds_write_b32 v2, v1
.LBB50_2:
	s_or_b64 exec, exec, s[0:1]
	v_cmp_gt_u32_e32 vcc, 64, v0
	s_waitcnt lgkmcnt(0)
	s_barrier
	s_and_saveexec_b64 s[4:5], vcc
	s_cbranch_execz .LBB50_16
; %bb.3:
	v_or_b32_e32 v2, 64, v0
	v_cmp_gt_u32_e32 vcc, s7, v2
	s_and_saveexec_b64 s[8:9], vcc
	s_cbranch_execz .LBB50_15
; %bb.4:
	v_sub_u32_e32 v3, s7, v0
	v_add_u32_e32 v3, 0xffffffbf, v3
	s_movk_i32 s0, 0x4c0
	v_cmp_gt_u32_e32 vcc, s0, v3
	s_movk_i32 s0, 0x4bf
	v_cmp_lt_u32_e64 s[0:1], s0, v3
	s_and_saveexec_b64 s[10:11], s[0:1]
	s_cbranch_execz .LBB50_10
; %bb.5:
	v_and_b32_e32 v4, 0xffffffc0, v3
	v_add_u32_e32 v4, v2, v4
	v_cmp_ge_i32_e64 s[0:1], v4, v2
	s_mov_b64 s[14:15], -1
	s_and_saveexec_b64 s[12:13], s[0:1]
	s_cbranch_execz .LBB50_9
; %bb.6:
	v_lshrrev_b32_e32 v3, 6, v3
	v_add_u32_e32 v6, 1, v3
	v_and_b32_e32 v7, 0x7fffffe, v6
	v_add_u32_e32 v3, 64, v2
	s_mov_b64 s[14:15], 0
	v_mov_b32_e32 v8, 0
	v_mov_b32_e32 v9, v7
	v_pk_mov_b32 v[4:5], v[2:3], v[2:3] op_sel:[0,1]
.LBB50_7:                               ; =>This Inner Loop Header: Depth=1
	v_lshlrev_b32_e32 v3, 2, v4
	v_lshlrev_b32_e32 v10, 2, v5
	ds_read_b32 v10, v10
	ds_read_b32 v3, v3
	v_add_u32_e32 v9, -2, v9
	v_cmp_eq_u32_e64 s[0:1], 0, v9
	v_add_u32_e32 v5, 0x80, v5
	v_add_u32_e32 v4, 0x80, v4
	s_or_b64 s[14:15], s[0:1], s[14:15]
	s_waitcnt lgkmcnt(1)
	v_add_u32_e32 v8, v10, v8
	s_waitcnt vmcnt(0) lgkmcnt(0)
	v_add_u32_e32 v1, v3, v1
	s_andn2_b64 exec, exec, s[14:15]
	s_cbranch_execnz .LBB50_7
; %bb.8:
	s_or_b64 exec, exec, s[14:15]
	v_cmp_ne_u32_e64 s[0:1], v6, v7
	v_lshl_or_b32 v2, v7, 6, v2
	v_add_u32_e32 v1, v1, v8
	s_orn2_b64 s[14:15], s[0:1], exec
.LBB50_9:
	s_or_b64 exec, exec, s[12:13]
	s_andn2_b64 s[0:1], vcc, exec
	s_and_b64 s[12:13], s[14:15], exec
	s_or_b64 vcc, s[0:1], s[12:13]
.LBB50_10:
	s_or_b64 exec, exec, s[10:11]
	s_and_saveexec_b64 s[0:1], vcc
	s_cbranch_execz .LBB50_14
; %bb.11:
	v_lshlrev_b32_e32 v3, 2, v2
	s_mov_b64 s[10:11], 0
.LBB50_12:                              ; =>This Inner Loop Header: Depth=1
	ds_read_b32 v4, v3
	v_add_u32_e32 v2, 64, v2
	v_cmp_le_u32_e32 vcc, s7, v2
	v_add_u32_e32 v3, 0x100, v3
	s_or_b64 s[10:11], vcc, s[10:11]
	s_waitcnt vmcnt(0) lgkmcnt(0)
	v_add_u32_e32 v1, v4, v1
	s_andn2_b64 exec, exec, s[10:11]
	s_cbranch_execnz .LBB50_12
; %bb.13:
	s_or_b64 exec, exec, s[10:11]
.LBB50_14:
	s_or_b64 exec, exec, s[0:1]
.LBB50_15:
	s_or_b64 exec, exec, s[8:9]
	v_mbcnt_lo_u32_b32 v2, -1, 0
	v_mbcnt_hi_u32_b32 v2, -1, v2
	v_and_b32_e32 v3, 63, v2
	v_cmp_ne_u32_e32 vcc, 63, v3
	v_addc_co_u32_e32 v4, vcc, 0, v2, vcc
	v_lshlrev_b32_e32 v4, 2, v4
	s_waitcnt vmcnt(0)
	ds_bpermute_b32 v4, v4, v1
	v_add_u32_e32 v5, 1, v2
	v_cmp_gt_u32_e32 vcc, s7, v5
	v_add_u32_e32 v5, 2, v2
	s_waitcnt lgkmcnt(0)
	v_cndmask_b32_e32 v4, 0, v4, vcc
	v_cmp_gt_u32_e32 vcc, 62, v3
	v_add_u32_e32 v1, v4, v1
	v_cndmask_b32_e64 v4, 0, 1, vcc
	v_lshlrev_b32_e32 v4, 1, v4
	v_add_lshl_u32 v4, v4, v2, 2
	ds_bpermute_b32 v4, v4, v1
	v_cmp_gt_u32_e32 vcc, s7, v5
	v_add_u32_e32 v5, 4, v2
	s_waitcnt lgkmcnt(0)
	v_cndmask_b32_e32 v4, 0, v4, vcc
	v_cmp_gt_u32_e32 vcc, 60, v3
	v_add_u32_e32 v1, v1, v4
	v_cndmask_b32_e64 v4, 0, 1, vcc
	v_lshlrev_b32_e32 v4, 2, v4
	v_add_lshl_u32 v4, v4, v2, 2
	ds_bpermute_b32 v4, v4, v1
	v_cmp_gt_u32_e32 vcc, s7, v5
	v_add_u32_e32 v5, 8, v2
	s_waitcnt lgkmcnt(0)
	v_cndmask_b32_e32 v4, 0, v4, vcc
	v_cmp_gt_u32_e32 vcc, 56, v3
	v_add_u32_e32 v1, v1, v4
	v_cndmask_b32_e64 v4, 0, 1, vcc
	v_lshlrev_b32_e32 v4, 3, v4
	v_add_lshl_u32 v4, v4, v2, 2
	ds_bpermute_b32 v4, v4, v1
	v_cmp_gt_u32_e32 vcc, s7, v5
	v_add_u32_e32 v5, 16, v2
	s_waitcnt lgkmcnt(0)
	v_cndmask_b32_e32 v4, 0, v4, vcc
	v_cmp_gt_u32_e32 vcc, 48, v3
	v_add_u32_e32 v1, v1, v4
	v_cndmask_b32_e64 v4, 0, 1, vcc
	v_lshlrev_b32_e32 v4, 4, v4
	v_add_lshl_u32 v4, v4, v2, 2
	ds_bpermute_b32 v4, v4, v1
	v_cmp_gt_u32_e32 vcc, s7, v5
	s_waitcnt lgkmcnt(0)
	v_cndmask_b32_e32 v4, 0, v4, vcc
	v_cmp_gt_u32_e32 vcc, 32, v3
	v_cndmask_b32_e64 v3, 0, 1, vcc
	v_lshlrev_b32_e32 v3, 5, v3
	v_add_u32_e32 v1, v1, v4
	v_add_lshl_u32 v3, v3, v2, 2
	ds_bpermute_b32 v3, v3, v1
	v_add_u32_e32 v2, 32, v2
	v_cmp_gt_u32_e32 vcc, s7, v2
	s_waitcnt lgkmcnt(0)
	v_cndmask_b32_e32 v2, 0, v3, vcc
	v_add_u32_e32 v1, v1, v2
.LBB50_16:
	s_or_b64 exec, exec, s[4:5]
	s_mov_b32 s7, 0
	v_cmp_eq_u32_e32 vcc, 0, v0
	s_and_saveexec_b64 s[0:1], vcc
	s_cbranch_execz .LBB50_18
; %bb.17:
	s_lshl_b64 s[0:1], s[6:7], 2
	s_add_u32 s0, s2, s0
	s_addc_u32 s1, s3, s1
	v_mov_b32_e32 v0, 0
	s_waitcnt vmcnt(0)
	global_store_dword v0, v1, s[0:1]
.LBB50_18:
	s_endpgm
	.section	.rodata,"a",@progbits
	.p2align	6, 0x0
	.amdhsa_kernel _Z19reduce_valid_kernelILj192ELN6hipcub20BlockReduceAlgorithmE2EiEvPT1_S3_j
		.amdhsa_group_segment_fixed_size 768
		.amdhsa_private_segment_fixed_size 0
		.amdhsa_kernarg_size 20
		.amdhsa_user_sgpr_count 6
		.amdhsa_user_sgpr_private_segment_buffer 1
		.amdhsa_user_sgpr_dispatch_ptr 0
		.amdhsa_user_sgpr_queue_ptr 0
		.amdhsa_user_sgpr_kernarg_segment_ptr 1
		.amdhsa_user_sgpr_dispatch_id 0
		.amdhsa_user_sgpr_flat_scratch_init 0
		.amdhsa_user_sgpr_kernarg_preload_length 0
		.amdhsa_user_sgpr_kernarg_preload_offset 0
		.amdhsa_user_sgpr_private_segment_size 0
		.amdhsa_uses_dynamic_stack 0
		.amdhsa_system_sgpr_private_segment_wavefront_offset 0
		.amdhsa_system_sgpr_workgroup_id_x 1
		.amdhsa_system_sgpr_workgroup_id_y 0
		.amdhsa_system_sgpr_workgroup_id_z 0
		.amdhsa_system_sgpr_workgroup_info 0
		.amdhsa_system_vgpr_workitem_id 0
		.amdhsa_next_free_vgpr 11
		.amdhsa_next_free_sgpr 16
		.amdhsa_accum_offset 12
		.amdhsa_reserve_vcc 1
		.amdhsa_reserve_flat_scratch 0
		.amdhsa_float_round_mode_32 0
		.amdhsa_float_round_mode_16_64 0
		.amdhsa_float_denorm_mode_32 3
		.amdhsa_float_denorm_mode_16_64 3
		.amdhsa_dx10_clamp 1
		.amdhsa_ieee_mode 1
		.amdhsa_fp16_overflow 0
		.amdhsa_tg_split 0
		.amdhsa_exception_fp_ieee_invalid_op 0
		.amdhsa_exception_fp_denorm_src 0
		.amdhsa_exception_fp_ieee_div_zero 0
		.amdhsa_exception_fp_ieee_overflow 0
		.amdhsa_exception_fp_ieee_underflow 0
		.amdhsa_exception_fp_ieee_inexact 0
		.amdhsa_exception_int_div_zero 0
	.end_amdhsa_kernel
	.section	.text._Z19reduce_valid_kernelILj192ELN6hipcub20BlockReduceAlgorithmE2EiEvPT1_S3_j,"axG",@progbits,_Z19reduce_valid_kernelILj192ELN6hipcub20BlockReduceAlgorithmE2EiEvPT1_S3_j,comdat
.Lfunc_end50:
	.size	_Z19reduce_valid_kernelILj192ELN6hipcub20BlockReduceAlgorithmE2EiEvPT1_S3_j, .Lfunc_end50-_Z19reduce_valid_kernelILj192ELN6hipcub20BlockReduceAlgorithmE2EiEvPT1_S3_j
                                        ; -- End function
	.section	.AMDGPU.csdata,"",@progbits
; Kernel info:
; codeLenInByte = 832
; NumSgprs: 20
; NumVgprs: 11
; NumAgprs: 0
; TotalNumVgprs: 11
; ScratchSize: 0
; MemoryBound: 0
; FloatMode: 240
; IeeeMode: 1
; LDSByteSize: 768 bytes/workgroup (compile time only)
; SGPRBlocks: 2
; VGPRBlocks: 1
; NumSGPRsForWavesPerEU: 20
; NumVGPRsForWavesPerEU: 11
; AccumOffset: 12
; Occupancy: 8
; WaveLimiterHint : 0
; COMPUTE_PGM_RSRC2:SCRATCH_EN: 0
; COMPUTE_PGM_RSRC2:USER_SGPR: 6
; COMPUTE_PGM_RSRC2:TRAP_HANDLER: 0
; COMPUTE_PGM_RSRC2:TGID_X_EN: 1
; COMPUTE_PGM_RSRC2:TGID_Y_EN: 0
; COMPUTE_PGM_RSRC2:TGID_Z_EN: 0
; COMPUTE_PGM_RSRC2:TIDIG_COMP_CNT: 0
; COMPUTE_PGM_RSRC3_GFX90A:ACCUM_OFFSET: 2
; COMPUTE_PGM_RSRC3_GFX90A:TG_SPLIT: 0
	.section	.text._Z19reduce_valid_kernelILj128ELN6hipcub20BlockReduceAlgorithmE2EiEvPT1_S3_j,"axG",@progbits,_Z19reduce_valid_kernelILj128ELN6hipcub20BlockReduceAlgorithmE2EiEvPT1_S3_j,comdat
	.protected	_Z19reduce_valid_kernelILj128ELN6hipcub20BlockReduceAlgorithmE2EiEvPT1_S3_j ; -- Begin function _Z19reduce_valid_kernelILj128ELN6hipcub20BlockReduceAlgorithmE2EiEvPT1_S3_j
	.globl	_Z19reduce_valid_kernelILj128ELN6hipcub20BlockReduceAlgorithmE2EiEvPT1_S3_j
	.p2align	8
	.type	_Z19reduce_valid_kernelILj128ELN6hipcub20BlockReduceAlgorithmE2EiEvPT1_S3_j,@function
_Z19reduce_valid_kernelILj128ELN6hipcub20BlockReduceAlgorithmE2EiEvPT1_S3_j: ; @_Z19reduce_valid_kernelILj128ELN6hipcub20BlockReduceAlgorithmE2EiEvPT1_S3_j
; %bb.0:
	s_load_dwordx4 s[0:3], s[4:5], 0x0
	s_load_dword s7, s[4:5], 0x10
	v_lshl_or_b32 v2, s6, 7, v0
	v_mov_b32_e32 v3, 0
	v_lshlrev_b64 v[2:3], 2, v[2:3]
	s_waitcnt lgkmcnt(0)
	v_mov_b32_e32 v1, s1
	v_add_co_u32_e32 v2, vcc, s0, v2
	v_addc_co_u32_e32 v3, vcc, v1, v3, vcc
	global_load_dword v1, v[2:3], off
	v_cmp_lt_u32_e32 vcc, 63, v0
	v_cmp_gt_u32_e64 s[0:1], s7, v0
	s_and_b64 s[4:5], vcc, s[0:1]
	s_and_saveexec_b64 s[0:1], s[4:5]
	s_cbranch_execz .LBB51_2
; %bb.1:
	v_lshlrev_b32_e32 v2, 2, v0
	s_waitcnt vmcnt(0)
	ds_write_b32 v2, v1
.LBB51_2:
	s_or_b64 exec, exec, s[0:1]
	v_cmp_gt_u32_e32 vcc, 64, v0
	s_waitcnt lgkmcnt(0)
	s_barrier
	s_and_saveexec_b64 s[4:5], vcc
	s_cbranch_execz .LBB51_16
; %bb.3:
	v_or_b32_e32 v2, 64, v0
	v_cmp_gt_u32_e32 vcc, s7, v2
	s_and_saveexec_b64 s[8:9], vcc
	s_cbranch_execz .LBB51_15
; %bb.4:
	v_sub_u32_e32 v3, s7, v0
	v_add_u32_e32 v3, 0xffffffbf, v3
	s_movk_i32 s0, 0x4c0
	v_cmp_gt_u32_e32 vcc, s0, v3
	s_movk_i32 s0, 0x4bf
	v_cmp_lt_u32_e64 s[0:1], s0, v3
	s_and_saveexec_b64 s[10:11], s[0:1]
	s_cbranch_execz .LBB51_10
; %bb.5:
	v_and_b32_e32 v4, 0xffffffc0, v3
	v_add_u32_e32 v4, v2, v4
	v_cmp_ge_i32_e64 s[0:1], v4, v2
	s_mov_b64 s[14:15], -1
	s_and_saveexec_b64 s[12:13], s[0:1]
	s_cbranch_execz .LBB51_9
; %bb.6:
	v_lshrrev_b32_e32 v3, 6, v3
	v_add_u32_e32 v6, 1, v3
	v_and_b32_e32 v7, 0x7fffffe, v6
	v_add_u32_e32 v3, 64, v2
	s_mov_b64 s[14:15], 0
	v_mov_b32_e32 v8, 0
	v_mov_b32_e32 v9, v7
	v_pk_mov_b32 v[4:5], v[2:3], v[2:3] op_sel:[0,1]
.LBB51_7:                               ; =>This Inner Loop Header: Depth=1
	v_lshlrev_b32_e32 v3, 2, v4
	v_lshlrev_b32_e32 v10, 2, v5
	ds_read_b32 v10, v10
	ds_read_b32 v3, v3
	v_add_u32_e32 v9, -2, v9
	v_cmp_eq_u32_e64 s[0:1], 0, v9
	v_add_u32_e32 v5, 0x80, v5
	v_add_u32_e32 v4, 0x80, v4
	s_or_b64 s[14:15], s[0:1], s[14:15]
	s_waitcnt lgkmcnt(1)
	v_add_u32_e32 v8, v10, v8
	s_waitcnt vmcnt(0) lgkmcnt(0)
	v_add_u32_e32 v1, v3, v1
	s_andn2_b64 exec, exec, s[14:15]
	s_cbranch_execnz .LBB51_7
; %bb.8:
	s_or_b64 exec, exec, s[14:15]
	v_cmp_ne_u32_e64 s[0:1], v6, v7
	v_lshl_or_b32 v2, v7, 6, v2
	v_add_u32_e32 v1, v1, v8
	s_orn2_b64 s[14:15], s[0:1], exec
.LBB51_9:
	s_or_b64 exec, exec, s[12:13]
	s_andn2_b64 s[0:1], vcc, exec
	s_and_b64 s[12:13], s[14:15], exec
	s_or_b64 vcc, s[0:1], s[12:13]
.LBB51_10:
	s_or_b64 exec, exec, s[10:11]
	s_and_saveexec_b64 s[0:1], vcc
	s_cbranch_execz .LBB51_14
; %bb.11:
	v_lshlrev_b32_e32 v3, 2, v2
	s_mov_b64 s[10:11], 0
.LBB51_12:                              ; =>This Inner Loop Header: Depth=1
	ds_read_b32 v4, v3
	v_add_u32_e32 v2, 64, v2
	v_cmp_le_u32_e32 vcc, s7, v2
	v_add_u32_e32 v3, 0x100, v3
	s_or_b64 s[10:11], vcc, s[10:11]
	s_waitcnt vmcnt(0) lgkmcnt(0)
	v_add_u32_e32 v1, v4, v1
	s_andn2_b64 exec, exec, s[10:11]
	s_cbranch_execnz .LBB51_12
; %bb.13:
	s_or_b64 exec, exec, s[10:11]
.LBB51_14:
	s_or_b64 exec, exec, s[0:1]
.LBB51_15:
	s_or_b64 exec, exec, s[8:9]
	v_mbcnt_lo_u32_b32 v2, -1, 0
	v_mbcnt_hi_u32_b32 v2, -1, v2
	v_and_b32_e32 v3, 63, v2
	v_cmp_ne_u32_e32 vcc, 63, v3
	v_addc_co_u32_e32 v4, vcc, 0, v2, vcc
	v_lshlrev_b32_e32 v4, 2, v4
	s_waitcnt vmcnt(0)
	ds_bpermute_b32 v4, v4, v1
	v_add_u32_e32 v5, 1, v2
	v_cmp_gt_u32_e32 vcc, s7, v5
	v_add_u32_e32 v5, 2, v2
	s_waitcnt lgkmcnt(0)
	v_cndmask_b32_e32 v4, 0, v4, vcc
	v_cmp_gt_u32_e32 vcc, 62, v3
	v_add_u32_e32 v1, v4, v1
	v_cndmask_b32_e64 v4, 0, 1, vcc
	v_lshlrev_b32_e32 v4, 1, v4
	v_add_lshl_u32 v4, v4, v2, 2
	ds_bpermute_b32 v4, v4, v1
	v_cmp_gt_u32_e32 vcc, s7, v5
	v_add_u32_e32 v5, 4, v2
	s_waitcnt lgkmcnt(0)
	v_cndmask_b32_e32 v4, 0, v4, vcc
	v_cmp_gt_u32_e32 vcc, 60, v3
	v_add_u32_e32 v1, v1, v4
	v_cndmask_b32_e64 v4, 0, 1, vcc
	v_lshlrev_b32_e32 v4, 2, v4
	v_add_lshl_u32 v4, v4, v2, 2
	ds_bpermute_b32 v4, v4, v1
	;; [unrolled: 10-line block ×4, first 2 shown]
	v_cmp_gt_u32_e32 vcc, s7, v5
	s_waitcnt lgkmcnt(0)
	v_cndmask_b32_e32 v4, 0, v4, vcc
	v_cmp_gt_u32_e32 vcc, 32, v3
	v_cndmask_b32_e64 v3, 0, 1, vcc
	v_lshlrev_b32_e32 v3, 5, v3
	v_add_u32_e32 v1, v1, v4
	v_add_lshl_u32 v3, v3, v2, 2
	ds_bpermute_b32 v3, v3, v1
	v_add_u32_e32 v2, 32, v2
	v_cmp_gt_u32_e32 vcc, s7, v2
	s_waitcnt lgkmcnt(0)
	v_cndmask_b32_e32 v2, 0, v3, vcc
	v_add_u32_e32 v1, v1, v2
.LBB51_16:
	s_or_b64 exec, exec, s[4:5]
	s_mov_b32 s7, 0
	v_cmp_eq_u32_e32 vcc, 0, v0
	s_and_saveexec_b64 s[0:1], vcc
	s_cbranch_execz .LBB51_18
; %bb.17:
	s_lshl_b64 s[0:1], s[6:7], 2
	s_add_u32 s0, s2, s0
	s_addc_u32 s1, s3, s1
	v_mov_b32_e32 v0, 0
	s_waitcnt vmcnt(0)
	global_store_dword v0, v1, s[0:1]
.LBB51_18:
	s_endpgm
	.section	.rodata,"a",@progbits
	.p2align	6, 0x0
	.amdhsa_kernel _Z19reduce_valid_kernelILj128ELN6hipcub20BlockReduceAlgorithmE2EiEvPT1_S3_j
		.amdhsa_group_segment_fixed_size 512
		.amdhsa_private_segment_fixed_size 0
		.amdhsa_kernarg_size 20
		.amdhsa_user_sgpr_count 6
		.amdhsa_user_sgpr_private_segment_buffer 1
		.amdhsa_user_sgpr_dispatch_ptr 0
		.amdhsa_user_sgpr_queue_ptr 0
		.amdhsa_user_sgpr_kernarg_segment_ptr 1
		.amdhsa_user_sgpr_dispatch_id 0
		.amdhsa_user_sgpr_flat_scratch_init 0
		.amdhsa_user_sgpr_kernarg_preload_length 0
		.amdhsa_user_sgpr_kernarg_preload_offset 0
		.amdhsa_user_sgpr_private_segment_size 0
		.amdhsa_uses_dynamic_stack 0
		.amdhsa_system_sgpr_private_segment_wavefront_offset 0
		.amdhsa_system_sgpr_workgroup_id_x 1
		.amdhsa_system_sgpr_workgroup_id_y 0
		.amdhsa_system_sgpr_workgroup_id_z 0
		.amdhsa_system_sgpr_workgroup_info 0
		.amdhsa_system_vgpr_workitem_id 0
		.amdhsa_next_free_vgpr 11
		.amdhsa_next_free_sgpr 16
		.amdhsa_accum_offset 12
		.amdhsa_reserve_vcc 1
		.amdhsa_reserve_flat_scratch 0
		.amdhsa_float_round_mode_32 0
		.amdhsa_float_round_mode_16_64 0
		.amdhsa_float_denorm_mode_32 3
		.amdhsa_float_denorm_mode_16_64 3
		.amdhsa_dx10_clamp 1
		.amdhsa_ieee_mode 1
		.amdhsa_fp16_overflow 0
		.amdhsa_tg_split 0
		.amdhsa_exception_fp_ieee_invalid_op 0
		.amdhsa_exception_fp_denorm_src 0
		.amdhsa_exception_fp_ieee_div_zero 0
		.amdhsa_exception_fp_ieee_overflow 0
		.amdhsa_exception_fp_ieee_underflow 0
		.amdhsa_exception_fp_ieee_inexact 0
		.amdhsa_exception_int_div_zero 0
	.end_amdhsa_kernel
	.section	.text._Z19reduce_valid_kernelILj128ELN6hipcub20BlockReduceAlgorithmE2EiEvPT1_S3_j,"axG",@progbits,_Z19reduce_valid_kernelILj128ELN6hipcub20BlockReduceAlgorithmE2EiEvPT1_S3_j,comdat
.Lfunc_end51:
	.size	_Z19reduce_valid_kernelILj128ELN6hipcub20BlockReduceAlgorithmE2EiEvPT1_S3_j, .Lfunc_end51-_Z19reduce_valid_kernelILj128ELN6hipcub20BlockReduceAlgorithmE2EiEvPT1_S3_j
                                        ; -- End function
	.section	.AMDGPU.csdata,"",@progbits
; Kernel info:
; codeLenInByte = 828
; NumSgprs: 20
; NumVgprs: 11
; NumAgprs: 0
; TotalNumVgprs: 11
; ScratchSize: 0
; MemoryBound: 0
; FloatMode: 240
; IeeeMode: 1
; LDSByteSize: 512 bytes/workgroup (compile time only)
; SGPRBlocks: 2
; VGPRBlocks: 1
; NumSGPRsForWavesPerEU: 20
; NumVGPRsForWavesPerEU: 11
; AccumOffset: 12
; Occupancy: 8
; WaveLimiterHint : 0
; COMPUTE_PGM_RSRC2:SCRATCH_EN: 0
; COMPUTE_PGM_RSRC2:USER_SGPR: 6
; COMPUTE_PGM_RSRC2:TRAP_HANDLER: 0
; COMPUTE_PGM_RSRC2:TGID_X_EN: 1
; COMPUTE_PGM_RSRC2:TGID_Y_EN: 0
; COMPUTE_PGM_RSRC2:TGID_Z_EN: 0
; COMPUTE_PGM_RSRC2:TIDIG_COMP_CNT: 0
; COMPUTE_PGM_RSRC3_GFX90A:ACCUM_OFFSET: 2
; COMPUTE_PGM_RSRC3_GFX90A:TG_SPLIT: 0
	.section	.text._Z19reduce_valid_kernelILj64ELN6hipcub20BlockReduceAlgorithmE2EiEvPT1_S3_j,"axG",@progbits,_Z19reduce_valid_kernelILj64ELN6hipcub20BlockReduceAlgorithmE2EiEvPT1_S3_j,comdat
	.protected	_Z19reduce_valid_kernelILj64ELN6hipcub20BlockReduceAlgorithmE2EiEvPT1_S3_j ; -- Begin function _Z19reduce_valid_kernelILj64ELN6hipcub20BlockReduceAlgorithmE2EiEvPT1_S3_j
	.globl	_Z19reduce_valid_kernelILj64ELN6hipcub20BlockReduceAlgorithmE2EiEvPT1_S3_j
	.p2align	8
	.type	_Z19reduce_valid_kernelILj64ELN6hipcub20BlockReduceAlgorithmE2EiEvPT1_S3_j,@function
_Z19reduce_valid_kernelILj64ELN6hipcub20BlockReduceAlgorithmE2EiEvPT1_S3_j: ; @_Z19reduce_valid_kernelILj64ELN6hipcub20BlockReduceAlgorithmE2EiEvPT1_S3_j
; %bb.0:
	s_load_dwordx4 s[0:3], s[4:5], 0x0
	s_load_dword s7, s[4:5], 0x10
	v_lshl_or_b32 v2, s6, 6, v0
	v_mov_b32_e32 v3, 0
	v_lshlrev_b64 v[2:3], 2, v[2:3]
	s_waitcnt lgkmcnt(0)
	v_mov_b32_e32 v1, s1
	v_add_co_u32_e32 v2, vcc, s0, v2
	v_addc_co_u32_e32 v3, vcc, v1, v3, vcc
	global_load_dword v1, v[2:3], off
	v_cmp_lt_u32_e32 vcc, 63, v0
	v_cmp_gt_u32_e64 s[0:1], s7, v0
	s_and_b64 s[4:5], vcc, s[0:1]
	s_and_saveexec_b64 s[0:1], s[4:5]
	s_cbranch_execz .LBB52_2
; %bb.1:
	v_lshlrev_b32_e32 v2, 2, v0
	s_waitcnt vmcnt(0)
	ds_write_b32 v2, v1
.LBB52_2:
	s_or_b64 exec, exec, s[0:1]
	v_cmp_gt_u32_e32 vcc, 64, v0
	s_waitcnt lgkmcnt(0)
	; wave barrier
	s_waitcnt lgkmcnt(0)
	s_and_saveexec_b64 s[4:5], vcc
	s_cbranch_execz .LBB52_16
; %bb.3:
	v_or_b32_e32 v2, 64, v0
	v_cmp_gt_u32_e32 vcc, s7, v2
	s_and_saveexec_b64 s[8:9], vcc
	s_cbranch_execz .LBB52_15
; %bb.4:
	v_sub_u32_e32 v3, s7, v0
	v_add_u32_e32 v3, 0xffffffbf, v3
	s_movk_i32 s0, 0x4c0
	v_cmp_gt_u32_e32 vcc, s0, v3
	s_movk_i32 s0, 0x4bf
	v_cmp_lt_u32_e64 s[0:1], s0, v3
	s_and_saveexec_b64 s[10:11], s[0:1]
	s_cbranch_execz .LBB52_10
; %bb.5:
	v_and_b32_e32 v4, 0xffffffc0, v3
	v_add_u32_e32 v4, v2, v4
	v_cmp_ge_i32_e64 s[0:1], v4, v2
	s_mov_b64 s[14:15], -1
	s_and_saveexec_b64 s[12:13], s[0:1]
	s_cbranch_execz .LBB52_9
; %bb.6:
	v_lshrrev_b32_e32 v3, 6, v3
	v_add_u32_e32 v6, 1, v3
	v_and_b32_e32 v7, 0x7fffffe, v6
	v_add_u32_e32 v3, 64, v2
	s_mov_b64 s[14:15], 0
	v_mov_b32_e32 v8, 0
	v_mov_b32_e32 v9, v7
	v_pk_mov_b32 v[4:5], v[2:3], v[2:3] op_sel:[0,1]
.LBB52_7:                               ; =>This Inner Loop Header: Depth=1
	v_lshlrev_b32_e32 v3, 2, v4
	v_lshlrev_b32_e32 v10, 2, v5
	ds_read_b32 v10, v10
	ds_read_b32 v3, v3
	v_add_u32_e32 v9, -2, v9
	v_cmp_eq_u32_e64 s[0:1], 0, v9
	v_add_u32_e32 v5, 0x80, v5
	v_add_u32_e32 v4, 0x80, v4
	s_or_b64 s[14:15], s[0:1], s[14:15]
	s_waitcnt lgkmcnt(1)
	v_add_u32_e32 v8, v10, v8
	s_waitcnt vmcnt(0) lgkmcnt(0)
	v_add_u32_e32 v1, v3, v1
	s_andn2_b64 exec, exec, s[14:15]
	s_cbranch_execnz .LBB52_7
; %bb.8:
	s_or_b64 exec, exec, s[14:15]
	v_cmp_ne_u32_e64 s[0:1], v6, v7
	v_lshl_or_b32 v2, v7, 6, v2
	v_add_u32_e32 v1, v1, v8
	s_orn2_b64 s[14:15], s[0:1], exec
.LBB52_9:
	s_or_b64 exec, exec, s[12:13]
	s_andn2_b64 s[0:1], vcc, exec
	s_and_b64 s[12:13], s[14:15], exec
	s_or_b64 vcc, s[0:1], s[12:13]
.LBB52_10:
	s_or_b64 exec, exec, s[10:11]
	s_and_saveexec_b64 s[0:1], vcc
	s_cbranch_execz .LBB52_14
; %bb.11:
	v_lshlrev_b32_e32 v3, 2, v2
	s_mov_b64 s[10:11], 0
.LBB52_12:                              ; =>This Inner Loop Header: Depth=1
	ds_read_b32 v4, v3
	v_add_u32_e32 v2, 64, v2
	v_cmp_le_u32_e32 vcc, s7, v2
	v_add_u32_e32 v3, 0x100, v3
	s_or_b64 s[10:11], vcc, s[10:11]
	s_waitcnt vmcnt(0) lgkmcnt(0)
	v_add_u32_e32 v1, v4, v1
	s_andn2_b64 exec, exec, s[10:11]
	s_cbranch_execnz .LBB52_12
; %bb.13:
	s_or_b64 exec, exec, s[10:11]
.LBB52_14:
	s_or_b64 exec, exec, s[0:1]
.LBB52_15:
	s_or_b64 exec, exec, s[8:9]
	v_mbcnt_lo_u32_b32 v2, -1, 0
	v_mbcnt_hi_u32_b32 v2, -1, v2
	v_and_b32_e32 v3, 63, v2
	v_cmp_ne_u32_e32 vcc, 63, v3
	v_addc_co_u32_e32 v4, vcc, 0, v2, vcc
	v_lshlrev_b32_e32 v4, 2, v4
	s_waitcnt vmcnt(0)
	ds_bpermute_b32 v4, v4, v1
	v_add_u32_e32 v5, 1, v2
	v_cmp_gt_u32_e32 vcc, s7, v5
	v_add_u32_e32 v5, 2, v2
	s_waitcnt lgkmcnt(0)
	v_cndmask_b32_e32 v4, 0, v4, vcc
	v_cmp_gt_u32_e32 vcc, 62, v3
	v_add_u32_e32 v1, v4, v1
	v_cndmask_b32_e64 v4, 0, 1, vcc
	v_lshlrev_b32_e32 v4, 1, v4
	v_add_lshl_u32 v4, v4, v2, 2
	ds_bpermute_b32 v4, v4, v1
	v_cmp_gt_u32_e32 vcc, s7, v5
	v_add_u32_e32 v5, 4, v2
	s_waitcnt lgkmcnt(0)
	v_cndmask_b32_e32 v4, 0, v4, vcc
	v_cmp_gt_u32_e32 vcc, 60, v3
	v_add_u32_e32 v1, v1, v4
	v_cndmask_b32_e64 v4, 0, 1, vcc
	v_lshlrev_b32_e32 v4, 2, v4
	v_add_lshl_u32 v4, v4, v2, 2
	ds_bpermute_b32 v4, v4, v1
	;; [unrolled: 10-line block ×4, first 2 shown]
	v_cmp_gt_u32_e32 vcc, s7, v5
	s_waitcnt lgkmcnt(0)
	v_cndmask_b32_e32 v4, 0, v4, vcc
	v_cmp_gt_u32_e32 vcc, 32, v3
	v_cndmask_b32_e64 v3, 0, 1, vcc
	v_lshlrev_b32_e32 v3, 5, v3
	v_add_u32_e32 v1, v1, v4
	v_add_lshl_u32 v3, v3, v2, 2
	ds_bpermute_b32 v3, v3, v1
	v_add_u32_e32 v2, 32, v2
	v_cmp_gt_u32_e32 vcc, s7, v2
	s_waitcnt lgkmcnt(0)
	v_cndmask_b32_e32 v2, 0, v3, vcc
	v_add_u32_e32 v1, v1, v2
.LBB52_16:
	s_or_b64 exec, exec, s[4:5]
	s_mov_b32 s7, 0
	v_cmp_eq_u32_e32 vcc, 0, v0
	s_and_saveexec_b64 s[0:1], vcc
	s_cbranch_execz .LBB52_18
; %bb.17:
	s_lshl_b64 s[0:1], s[6:7], 2
	s_add_u32 s0, s2, s0
	s_addc_u32 s1, s3, s1
	v_mov_b32_e32 v0, 0
	s_waitcnt vmcnt(0)
	global_store_dword v0, v1, s[0:1]
.LBB52_18:
	s_endpgm
	.section	.rodata,"a",@progbits
	.p2align	6, 0x0
	.amdhsa_kernel _Z19reduce_valid_kernelILj64ELN6hipcub20BlockReduceAlgorithmE2EiEvPT1_S3_j
		.amdhsa_group_segment_fixed_size 256
		.amdhsa_private_segment_fixed_size 0
		.amdhsa_kernarg_size 20
		.amdhsa_user_sgpr_count 6
		.amdhsa_user_sgpr_private_segment_buffer 1
		.amdhsa_user_sgpr_dispatch_ptr 0
		.amdhsa_user_sgpr_queue_ptr 0
		.amdhsa_user_sgpr_kernarg_segment_ptr 1
		.amdhsa_user_sgpr_dispatch_id 0
		.amdhsa_user_sgpr_flat_scratch_init 0
		.amdhsa_user_sgpr_kernarg_preload_length 0
		.amdhsa_user_sgpr_kernarg_preload_offset 0
		.amdhsa_user_sgpr_private_segment_size 0
		.amdhsa_uses_dynamic_stack 0
		.amdhsa_system_sgpr_private_segment_wavefront_offset 0
		.amdhsa_system_sgpr_workgroup_id_x 1
		.amdhsa_system_sgpr_workgroup_id_y 0
		.amdhsa_system_sgpr_workgroup_id_z 0
		.amdhsa_system_sgpr_workgroup_info 0
		.amdhsa_system_vgpr_workitem_id 0
		.amdhsa_next_free_vgpr 11
		.amdhsa_next_free_sgpr 16
		.amdhsa_accum_offset 12
		.amdhsa_reserve_vcc 1
		.amdhsa_reserve_flat_scratch 0
		.amdhsa_float_round_mode_32 0
		.amdhsa_float_round_mode_16_64 0
		.amdhsa_float_denorm_mode_32 3
		.amdhsa_float_denorm_mode_16_64 3
		.amdhsa_dx10_clamp 1
		.amdhsa_ieee_mode 1
		.amdhsa_fp16_overflow 0
		.amdhsa_tg_split 0
		.amdhsa_exception_fp_ieee_invalid_op 0
		.amdhsa_exception_fp_denorm_src 0
		.amdhsa_exception_fp_ieee_div_zero 0
		.amdhsa_exception_fp_ieee_overflow 0
		.amdhsa_exception_fp_ieee_underflow 0
		.amdhsa_exception_fp_ieee_inexact 0
		.amdhsa_exception_int_div_zero 0
	.end_amdhsa_kernel
	.section	.text._Z19reduce_valid_kernelILj64ELN6hipcub20BlockReduceAlgorithmE2EiEvPT1_S3_j,"axG",@progbits,_Z19reduce_valid_kernelILj64ELN6hipcub20BlockReduceAlgorithmE2EiEvPT1_S3_j,comdat
.Lfunc_end52:
	.size	_Z19reduce_valid_kernelILj64ELN6hipcub20BlockReduceAlgorithmE2EiEvPT1_S3_j, .Lfunc_end52-_Z19reduce_valid_kernelILj64ELN6hipcub20BlockReduceAlgorithmE2EiEvPT1_S3_j
                                        ; -- End function
	.section	.AMDGPU.csdata,"",@progbits
; Kernel info:
; codeLenInByte = 828
; NumSgprs: 20
; NumVgprs: 11
; NumAgprs: 0
; TotalNumVgprs: 11
; ScratchSize: 0
; MemoryBound: 0
; FloatMode: 240
; IeeeMode: 1
; LDSByteSize: 256 bytes/workgroup (compile time only)
; SGPRBlocks: 2
; VGPRBlocks: 1
; NumSGPRsForWavesPerEU: 20
; NumVGPRsForWavesPerEU: 11
; AccumOffset: 12
; Occupancy: 8
; WaveLimiterHint : 0
; COMPUTE_PGM_RSRC2:SCRATCH_EN: 0
; COMPUTE_PGM_RSRC2:USER_SGPR: 6
; COMPUTE_PGM_RSRC2:TRAP_HANDLER: 0
; COMPUTE_PGM_RSRC2:TGID_X_EN: 1
; COMPUTE_PGM_RSRC2:TGID_Y_EN: 0
; COMPUTE_PGM_RSRC2:TGID_Z_EN: 0
; COMPUTE_PGM_RSRC2:TIDIG_COMP_CNT: 0
; COMPUTE_PGM_RSRC3_GFX90A:ACCUM_OFFSET: 2
; COMPUTE_PGM_RSRC3_GFX90A:TG_SPLIT: 0
	.section	.text._Z19reduce_valid_kernelILj377ELN6hipcub20BlockReduceAlgorithmE1EhEvPT1_S3_j,"axG",@progbits,_Z19reduce_valid_kernelILj377ELN6hipcub20BlockReduceAlgorithmE1EhEvPT1_S3_j,comdat
	.protected	_Z19reduce_valid_kernelILj377ELN6hipcub20BlockReduceAlgorithmE1EhEvPT1_S3_j ; -- Begin function _Z19reduce_valid_kernelILj377ELN6hipcub20BlockReduceAlgorithmE1EhEvPT1_S3_j
	.globl	_Z19reduce_valid_kernelILj377ELN6hipcub20BlockReduceAlgorithmE1EhEvPT1_S3_j
	.p2align	8
	.type	_Z19reduce_valid_kernelILj377ELN6hipcub20BlockReduceAlgorithmE1EhEvPT1_S3_j,@function
_Z19reduce_valid_kernelILj377ELN6hipcub20BlockReduceAlgorithmE1EhEvPT1_S3_j: ; @_Z19reduce_valid_kernelILj377ELN6hipcub20BlockReduceAlgorithmE1EhEvPT1_S3_j
; %bb.0:
	s_load_dwordx4 s[8:11], s[4:5], 0x0
	s_load_dword s2, s[4:5], 0x10
	s_mul_i32 s0, s6, 0x179
	v_add_u32_e32 v1, s0, v0
	s_waitcnt lgkmcnt(0)
	global_load_ubyte v1, v1, s[8:9]
	v_cmp_gt_u32_e32 vcc, s2, v0
	s_and_saveexec_b64 s[0:1], vcc
	s_cbranch_execz .LBB53_2
; %bb.1:
	s_waitcnt vmcnt(0)
	ds_write_b8 v0, v1
.LBB53_2:
	s_or_b64 exec, exec, s[0:1]
	v_mul_u32_u24_e32 v2, 6, v0
	v_cmp_gt_u32_e32 vcc, s2, v2
	s_waitcnt lgkmcnt(0)
	s_barrier
	s_and_saveexec_b64 s[8:9], vcc
	s_cbranch_execnz .LBB53_5
; %bb.3:
	s_or_b64 exec, exec, s[8:9]
	v_cmp_eq_u32_e32 vcc, 0, v0
	s_and_saveexec_b64 s[0:1], vcc
	s_cbranch_execnz .LBB53_16
.LBB53_4:
	s_endpgm
.LBB53_5:
	s_waitcnt vmcnt(0)
	ds_read_u8 v1, v2
	v_or_b32_e32 v3, 1, v2
	v_cmp_gt_u32_e32 vcc, s2, v3
	s_and_saveexec_b64 s[0:1], vcc
	s_cbranch_execz .LBB53_7
; %bb.6:
	ds_read_u8 v3, v2 offset:1
	s_waitcnt lgkmcnt(0)
	v_add_u16_e32 v1, v3, v1
.LBB53_7:
	s_or_b64 exec, exec, s[0:1]
	v_add_u32_e32 v3, 2, v2
	v_cmp_gt_u32_e32 vcc, s2, v3
	s_and_saveexec_b64 s[0:1], vcc
	s_cbranch_execz .LBB53_9
; %bb.8:
	ds_read_u8 v3, v2 offset:2
	s_waitcnt lgkmcnt(0)
	v_add_u16_e32 v1, v3, v1
.LBB53_9:
	s_or_b64 exec, exec, s[0:1]
	v_add_u32_e32 v3, 3, v2
	;; [unrolled: 10-line block ×4, first 2 shown]
	v_cmp_gt_u32_e32 vcc, s2, v3
	s_and_saveexec_b64 s[0:1], vcc
	s_cbranch_execz .LBB53_15
; %bb.14:
	ds_read_u8 v2, v2 offset:5
	s_waitcnt lgkmcnt(0)
	v_add_u16_e32 v1, v2, v1
.LBB53_15:
	s_or_b64 exec, exec, s[0:1]
	v_mbcnt_lo_u32_b32 v2, -1, 0
	v_mbcnt_hi_u32_b32 v2, -1, v2
	v_and_b32_e32 v3, 63, v2
	v_cmp_ne_u32_e32 vcc, 63, v3
	v_addc_co_u32_e32 v5, vcc, 0, v2, vcc
	s_waitcnt lgkmcnt(0)
	v_and_b32_e32 v4, 0xff, v1
	v_lshlrev_b32_e32 v5, 2, v5
	ds_bpermute_b32 v5, v5, v4
	s_add_i32 s2, s2, 5
	s_mul_hi_u32 s0, s2, 0xaaaaaaab
	s_lshr_b32 s7, s0, 2
	v_add_u32_e32 v6, 1, v2
	v_cmp_gt_u32_e64 s[0:1], 62, v3
	s_waitcnt lgkmcnt(0)
	v_add_u16_e32 v5, v1, v5
	v_cmp_gt_u32_e32 vcc, s7, v6
	v_cndmask_b32_e64 v6, 0, 1, s[0:1]
	v_and_b32_e32 v7, 0xff, v5
	v_lshlrev_b32_e32 v6, 1, v6
	v_cndmask_b32_e32 v4, v4, v7, vcc
	v_add_lshl_u32 v6, v6, v2, 2
	ds_bpermute_b32 v6, v6, v4
	v_cndmask_b32_e32 v5, v1, v5, vcc
	v_add_u32_e32 v7, 2, v2
	v_cmp_gt_u32_e64 s[2:3], 60, v3
	v_cmp_gt_u32_e64 s[0:1], s7, v7
	s_waitcnt lgkmcnt(0)
	v_add_u16_e32 v6, v5, v6
	v_cndmask_b32_e64 v7, 0, 1, s[2:3]
	v_and_b32_e32 v8, 0xff, v6
	v_lshlrev_b32_e32 v7, 2, v7
	v_cndmask_b32_e64 v4, v4, v8, s[0:1]
	v_add_lshl_u32 v7, v7, v2, 2
	ds_bpermute_b32 v7, v7, v4
	v_cndmask_b32_e64 v5, v5, v6, s[0:1]
	v_add_u32_e32 v6, 4, v2
	v_cmp_gt_u32_e64 s[4:5], 56, v3
	v_cmp_gt_u32_e64 s[2:3], s7, v6
	s_waitcnt lgkmcnt(0)
	v_add_u16_e32 v7, v5, v7
	v_cndmask_b32_e64 v6, 0, 1, s[4:5]
	v_and_b32_e32 v8, 0xff, v7
	v_lshlrev_b32_e32 v6, 3, v6
	v_cndmask_b32_e64 v4, v4, v8, s[2:3]
	v_add_lshl_u32 v6, v6, v2, 2
	ds_bpermute_b32 v6, v6, v4
	s_or_b64 s[4:5], vcc, s[0:1]
	v_cndmask_b32_e64 v5, v5, v7, s[2:3]
	v_add_u32_e32 v7, 8, v2
	v_cmp_gt_u32_e64 s[0:1], 48, v3
	s_waitcnt lgkmcnt(0)
	v_add_u16_e32 v6, v5, v6
	v_cmp_gt_u32_e32 vcc, s7, v7
	v_cndmask_b32_e64 v7, 0, 1, s[0:1]
	v_and_b32_e32 v8, 0xff, v6
	v_lshlrev_b32_e32 v7, 4, v7
	v_cndmask_b32_e32 v4, v4, v8, vcc
	v_add_lshl_u32 v7, v7, v2, 2
	ds_bpermute_b32 v7, v7, v4
	s_or_b64 s[0:1], s[2:3], s[4:5]
	v_cndmask_b32_e32 v5, v5, v6, vcc
	s_or_b64 s[2:3], vcc, s[0:1]
	v_cmp_gt_u32_e64 s[0:1], 32, v3
	v_add_u32_e32 v6, 16, v2
	s_waitcnt lgkmcnt(0)
	v_add_u16_e32 v7, v5, v7
	v_cndmask_b32_e64 v3, 0, 1, s[0:1]
	v_and_b32_e32 v8, 0xff, v7
	v_cmp_gt_u32_e32 vcc, s7, v6
	v_lshlrev_b32_e32 v3, 5, v3
	v_cndmask_b32_e32 v4, v4, v8, vcc
	v_add_lshl_u32 v3, v3, v2, 2
	ds_bpermute_b32 v3, v3, v4
	v_add_u32_e32 v2, 32, v2
	s_or_b64 s[0:1], vcc, s[2:3]
	v_cndmask_b32_e32 v4, v5, v7, vcc
	v_cmp_gt_u32_e32 vcc, s7, v2
	s_waitcnt lgkmcnt(0)
	v_cndmask_b32_e32 v2, 0, v3, vcc
	v_add_u16_e32 v2, v4, v2
	s_or_b64 vcc, vcc, s[0:1]
	v_cndmask_b32_e32 v1, v1, v2, vcc
	s_or_b64 exec, exec, s[8:9]
	v_cmp_eq_u32_e32 vcc, 0, v0
	s_and_saveexec_b64 s[0:1], vcc
	s_cbranch_execz .LBB53_4
.LBB53_16:
	v_mov_b32_e32 v0, s6
	s_waitcnt vmcnt(0)
	global_store_byte v0, v1, s[10:11]
	s_endpgm
	.section	.rodata,"a",@progbits
	.p2align	6, 0x0
	.amdhsa_kernel _Z19reduce_valid_kernelILj377ELN6hipcub20BlockReduceAlgorithmE1EhEvPT1_S3_j
		.amdhsa_group_segment_fixed_size 377
		.amdhsa_private_segment_fixed_size 0
		.amdhsa_kernarg_size 20
		.amdhsa_user_sgpr_count 6
		.amdhsa_user_sgpr_private_segment_buffer 1
		.amdhsa_user_sgpr_dispatch_ptr 0
		.amdhsa_user_sgpr_queue_ptr 0
		.amdhsa_user_sgpr_kernarg_segment_ptr 1
		.amdhsa_user_sgpr_dispatch_id 0
		.amdhsa_user_sgpr_flat_scratch_init 0
		.amdhsa_user_sgpr_kernarg_preload_length 0
		.amdhsa_user_sgpr_kernarg_preload_offset 0
		.amdhsa_user_sgpr_private_segment_size 0
		.amdhsa_uses_dynamic_stack 0
		.amdhsa_system_sgpr_private_segment_wavefront_offset 0
		.amdhsa_system_sgpr_workgroup_id_x 1
		.amdhsa_system_sgpr_workgroup_id_y 0
		.amdhsa_system_sgpr_workgroup_id_z 0
		.amdhsa_system_sgpr_workgroup_info 0
		.amdhsa_system_vgpr_workitem_id 0
		.amdhsa_next_free_vgpr 9
		.amdhsa_next_free_sgpr 12
		.amdhsa_accum_offset 12
		.amdhsa_reserve_vcc 1
		.amdhsa_reserve_flat_scratch 0
		.amdhsa_float_round_mode_32 0
		.amdhsa_float_round_mode_16_64 0
		.amdhsa_float_denorm_mode_32 3
		.amdhsa_float_denorm_mode_16_64 3
		.amdhsa_dx10_clamp 1
		.amdhsa_ieee_mode 1
		.amdhsa_fp16_overflow 0
		.amdhsa_tg_split 0
		.amdhsa_exception_fp_ieee_invalid_op 0
		.amdhsa_exception_fp_denorm_src 0
		.amdhsa_exception_fp_ieee_div_zero 0
		.amdhsa_exception_fp_ieee_overflow 0
		.amdhsa_exception_fp_ieee_underflow 0
		.amdhsa_exception_fp_ieee_inexact 0
		.amdhsa_exception_int_div_zero 0
	.end_amdhsa_kernel
	.section	.text._Z19reduce_valid_kernelILj377ELN6hipcub20BlockReduceAlgorithmE1EhEvPT1_S3_j,"axG",@progbits,_Z19reduce_valid_kernelILj377ELN6hipcub20BlockReduceAlgorithmE1EhEvPT1_S3_j,comdat
.Lfunc_end53:
	.size	_Z19reduce_valid_kernelILj377ELN6hipcub20BlockReduceAlgorithmE1EhEvPT1_S3_j, .Lfunc_end53-_Z19reduce_valid_kernelILj377ELN6hipcub20BlockReduceAlgorithmE1EhEvPT1_S3_j
                                        ; -- End function
	.section	.AMDGPU.csdata,"",@progbits
; Kernel info:
; codeLenInByte = 816
; NumSgprs: 16
; NumVgprs: 9
; NumAgprs: 0
; TotalNumVgprs: 9
; ScratchSize: 0
; MemoryBound: 0
; FloatMode: 240
; IeeeMode: 1
; LDSByteSize: 377 bytes/workgroup (compile time only)
; SGPRBlocks: 1
; VGPRBlocks: 1
; NumSGPRsForWavesPerEU: 16
; NumVGPRsForWavesPerEU: 9
; AccumOffset: 12
; Occupancy: 8
; WaveLimiterHint : 0
; COMPUTE_PGM_RSRC2:SCRATCH_EN: 0
; COMPUTE_PGM_RSRC2:USER_SGPR: 6
; COMPUTE_PGM_RSRC2:TRAP_HANDLER: 0
; COMPUTE_PGM_RSRC2:TGID_X_EN: 1
; COMPUTE_PGM_RSRC2:TGID_Y_EN: 0
; COMPUTE_PGM_RSRC2:TGID_Z_EN: 0
; COMPUTE_PGM_RSRC2:TIDIG_COMP_CNT: 0
; COMPUTE_PGM_RSRC3_GFX90A:ACCUM_OFFSET: 2
; COMPUTE_PGM_RSRC3_GFX90A:TG_SPLIT: 0
	.section	.text._Z19reduce_valid_kernelILj377ELN6hipcub20BlockReduceAlgorithmE1EiEvPT1_S3_j,"axG",@progbits,_Z19reduce_valid_kernelILj377ELN6hipcub20BlockReduceAlgorithmE1EiEvPT1_S3_j,comdat
	.protected	_Z19reduce_valid_kernelILj377ELN6hipcub20BlockReduceAlgorithmE1EiEvPT1_S3_j ; -- Begin function _Z19reduce_valid_kernelILj377ELN6hipcub20BlockReduceAlgorithmE1EiEvPT1_S3_j
	.globl	_Z19reduce_valid_kernelILj377ELN6hipcub20BlockReduceAlgorithmE1EiEvPT1_S3_j
	.p2align	8
	.type	_Z19reduce_valid_kernelILj377ELN6hipcub20BlockReduceAlgorithmE1EiEvPT1_S3_j,@function
_Z19reduce_valid_kernelILj377ELN6hipcub20BlockReduceAlgorithmE1EiEvPT1_S3_j: ; @_Z19reduce_valid_kernelILj377ELN6hipcub20BlockReduceAlgorithmE1EiEvPT1_S3_j
; %bb.0:
	s_load_dwordx4 s[0:3], s[4:5], 0x0
	s_load_dword s7, s[4:5], 0x10
	s_mul_i32 s4, s6, 0x179
	v_add_u32_e32 v2, s4, v0
	v_mov_b32_e32 v3, 0
	v_lshlrev_b64 v[2:3], 2, v[2:3]
	s_waitcnt lgkmcnt(0)
	v_mov_b32_e32 v1, s1
	v_add_co_u32_e32 v2, vcc, s0, v2
	v_addc_co_u32_e32 v3, vcc, v1, v3, vcc
	global_load_dword v1, v[2:3], off
	v_cmp_gt_u32_e32 vcc, s7, v0
	s_and_saveexec_b64 s[0:1], vcc
	s_cbranch_execz .LBB54_2
; %bb.1:
	v_lshlrev_b32_e32 v2, 2, v0
	s_waitcnt vmcnt(0)
	ds_write_b32 v2, v1
.LBB54_2:
	s_or_b64 exec, exec, s[0:1]
	v_mul_u32_u24_e32 v2, 6, v0
	v_cmp_gt_u32_e32 vcc, s7, v2
	s_waitcnt lgkmcnt(0)
	s_barrier
	s_and_saveexec_b64 s[0:1], vcc
	s_cbranch_execz .LBB54_14
; %bb.3:
	v_lshlrev_b32_e32 v3, 2, v2
	s_waitcnt vmcnt(0)
	ds_read_b32 v1, v3
	v_or_b32_e32 v4, 1, v2
	v_cmp_gt_u32_e32 vcc, s7, v4
	s_and_saveexec_b64 s[4:5], vcc
	s_cbranch_execz .LBB54_5
; %bb.4:
	ds_read_b32 v4, v3 offset:4
	s_waitcnt lgkmcnt(0)
	v_add_u32_e32 v1, v4, v1
.LBB54_5:
	s_or_b64 exec, exec, s[4:5]
	v_add_u32_e32 v4, 2, v2
	v_cmp_gt_u32_e32 vcc, s7, v4
	s_and_saveexec_b64 s[4:5], vcc
	s_cbranch_execz .LBB54_7
; %bb.6:
	ds_read_b32 v4, v3 offset:8
	s_waitcnt lgkmcnt(0)
	v_add_u32_e32 v1, v4, v1
.LBB54_7:
	s_or_b64 exec, exec, s[4:5]
	v_add_u32_e32 v4, 3, v2
	;; [unrolled: 10-line block ×4, first 2 shown]
	v_cmp_gt_u32_e32 vcc, s7, v2
	s_and_saveexec_b64 s[4:5], vcc
	s_cbranch_execz .LBB54_13
; %bb.12:
	ds_read_b32 v2, v3 offset:20
	s_waitcnt lgkmcnt(0)
	v_add_u32_e32 v1, v2, v1
.LBB54_13:
	s_or_b64 exec, exec, s[4:5]
	v_mbcnt_lo_u32_b32 v2, -1, 0
	v_mbcnt_hi_u32_b32 v2, -1, v2
	v_and_b32_e32 v3, 63, v2
	v_cmp_ne_u32_e32 vcc, 63, v3
	v_addc_co_u32_e32 v4, vcc, 0, v2, vcc
	v_lshlrev_b32_e32 v4, 2, v4
	s_waitcnt lgkmcnt(0)
	ds_bpermute_b32 v4, v4, v1
	s_add_i32 s7, s7, 5
	s_mul_hi_u32 s4, s7, 0xaaaaaaab
	s_lshr_b32 s4, s4, 2
	v_add_u32_e32 v5, 1, v2
	v_cmp_gt_u32_e32 vcc, s4, v5
	s_waitcnt lgkmcnt(0)
	v_cndmask_b32_e32 v4, 0, v4, vcc
	v_cmp_gt_u32_e32 vcc, 62, v3
	v_add_u32_e32 v1, v4, v1
	v_cndmask_b32_e64 v4, 0, 1, vcc
	v_lshlrev_b32_e32 v4, 1, v4
	v_add_lshl_u32 v4, v4, v2, 2
	ds_bpermute_b32 v4, v4, v1
	v_add_u32_e32 v5, 2, v2
	v_cmp_gt_u32_e32 vcc, s4, v5
	v_add_u32_e32 v5, 4, v2
	s_waitcnt lgkmcnt(0)
	v_cndmask_b32_e32 v4, 0, v4, vcc
	v_cmp_gt_u32_e32 vcc, 60, v3
	v_add_u32_e32 v1, v1, v4
	v_cndmask_b32_e64 v4, 0, 1, vcc
	v_lshlrev_b32_e32 v4, 2, v4
	v_add_lshl_u32 v4, v4, v2, 2
	ds_bpermute_b32 v4, v4, v1
	v_cmp_gt_u32_e32 vcc, s4, v5
	v_add_u32_e32 v5, 8, v2
	s_waitcnt lgkmcnt(0)
	v_cndmask_b32_e32 v4, 0, v4, vcc
	v_cmp_gt_u32_e32 vcc, 56, v3
	v_add_u32_e32 v1, v1, v4
	v_cndmask_b32_e64 v4, 0, 1, vcc
	v_lshlrev_b32_e32 v4, 3, v4
	v_add_lshl_u32 v4, v4, v2, 2
	ds_bpermute_b32 v4, v4, v1
	;; [unrolled: 10-line block ×3, first 2 shown]
	v_cmp_gt_u32_e32 vcc, s4, v5
	s_waitcnt lgkmcnt(0)
	v_cndmask_b32_e32 v4, 0, v4, vcc
	v_cmp_gt_u32_e32 vcc, 32, v3
	v_cndmask_b32_e64 v3, 0, 1, vcc
	v_lshlrev_b32_e32 v3, 5, v3
	v_add_u32_e32 v1, v1, v4
	v_add_lshl_u32 v3, v3, v2, 2
	ds_bpermute_b32 v3, v3, v1
	v_add_u32_e32 v2, 32, v2
	v_cmp_gt_u32_e32 vcc, s4, v2
	s_waitcnt lgkmcnt(0)
	v_cndmask_b32_e32 v2, 0, v3, vcc
	v_add_u32_e32 v1, v1, v2
.LBB54_14:
	s_or_b64 exec, exec, s[0:1]
	s_mov_b32 s7, 0
	v_cmp_eq_u32_e32 vcc, 0, v0
	s_and_saveexec_b64 s[0:1], vcc
	s_cbranch_execz .LBB54_16
; %bb.15:
	s_lshl_b64 s[0:1], s[6:7], 2
	s_add_u32 s0, s2, s0
	s_addc_u32 s1, s3, s1
	v_mov_b32_e32 v0, 0
	s_waitcnt vmcnt(0)
	global_store_dword v0, v1, s[0:1]
.LBB54_16:
	s_endpgm
	.section	.rodata,"a",@progbits
	.p2align	6, 0x0
	.amdhsa_kernel _Z19reduce_valid_kernelILj377ELN6hipcub20BlockReduceAlgorithmE1EiEvPT1_S3_j
		.amdhsa_group_segment_fixed_size 1508
		.amdhsa_private_segment_fixed_size 0
		.amdhsa_kernarg_size 20
		.amdhsa_user_sgpr_count 6
		.amdhsa_user_sgpr_private_segment_buffer 1
		.amdhsa_user_sgpr_dispatch_ptr 0
		.amdhsa_user_sgpr_queue_ptr 0
		.amdhsa_user_sgpr_kernarg_segment_ptr 1
		.amdhsa_user_sgpr_dispatch_id 0
		.amdhsa_user_sgpr_flat_scratch_init 0
		.amdhsa_user_sgpr_kernarg_preload_length 0
		.amdhsa_user_sgpr_kernarg_preload_offset 0
		.amdhsa_user_sgpr_private_segment_size 0
		.amdhsa_uses_dynamic_stack 0
		.amdhsa_system_sgpr_private_segment_wavefront_offset 0
		.amdhsa_system_sgpr_workgroup_id_x 1
		.amdhsa_system_sgpr_workgroup_id_y 0
		.amdhsa_system_sgpr_workgroup_id_z 0
		.amdhsa_system_sgpr_workgroup_info 0
		.amdhsa_system_vgpr_workitem_id 0
		.amdhsa_next_free_vgpr 6
		.amdhsa_next_free_sgpr 8
		.amdhsa_accum_offset 8
		.amdhsa_reserve_vcc 1
		.amdhsa_reserve_flat_scratch 0
		.amdhsa_float_round_mode_32 0
		.amdhsa_float_round_mode_16_64 0
		.amdhsa_float_denorm_mode_32 3
		.amdhsa_float_denorm_mode_16_64 3
		.amdhsa_dx10_clamp 1
		.amdhsa_ieee_mode 1
		.amdhsa_fp16_overflow 0
		.amdhsa_tg_split 0
		.amdhsa_exception_fp_ieee_invalid_op 0
		.amdhsa_exception_fp_denorm_src 0
		.amdhsa_exception_fp_ieee_div_zero 0
		.amdhsa_exception_fp_ieee_overflow 0
		.amdhsa_exception_fp_ieee_underflow 0
		.amdhsa_exception_fp_ieee_inexact 0
		.amdhsa_exception_int_div_zero 0
	.end_amdhsa_kernel
	.section	.text._Z19reduce_valid_kernelILj377ELN6hipcub20BlockReduceAlgorithmE1EiEvPT1_S3_j,"axG",@progbits,_Z19reduce_valid_kernelILj377ELN6hipcub20BlockReduceAlgorithmE1EiEvPT1_S3_j,comdat
.Lfunc_end54:
	.size	_Z19reduce_valid_kernelILj377ELN6hipcub20BlockReduceAlgorithmE1EiEvPT1_S3_j, .Lfunc_end54-_Z19reduce_valid_kernelILj377ELN6hipcub20BlockReduceAlgorithmE1EiEvPT1_S3_j
                                        ; -- End function
	.section	.AMDGPU.csdata,"",@progbits
; Kernel info:
; codeLenInByte = 708
; NumSgprs: 12
; NumVgprs: 6
; NumAgprs: 0
; TotalNumVgprs: 6
; ScratchSize: 0
; MemoryBound: 0
; FloatMode: 240
; IeeeMode: 1
; LDSByteSize: 1508 bytes/workgroup (compile time only)
; SGPRBlocks: 1
; VGPRBlocks: 0
; NumSGPRsForWavesPerEU: 12
; NumVGPRsForWavesPerEU: 6
; AccumOffset: 8
; Occupancy: 8
; WaveLimiterHint : 0
; COMPUTE_PGM_RSRC2:SCRATCH_EN: 0
; COMPUTE_PGM_RSRC2:USER_SGPR: 6
; COMPUTE_PGM_RSRC2:TRAP_HANDLER: 0
; COMPUTE_PGM_RSRC2:TGID_X_EN: 1
; COMPUTE_PGM_RSRC2:TGID_Y_EN: 0
; COMPUTE_PGM_RSRC2:TGID_Z_EN: 0
; COMPUTE_PGM_RSRC2:TIDIG_COMP_CNT: 0
; COMPUTE_PGM_RSRC3_GFX90A:ACCUM_OFFSET: 1
; COMPUTE_PGM_RSRC3_GFX90A:TG_SPLIT: 0
	.section	.text._Z19reduce_valid_kernelILj255ELN6hipcub20BlockReduceAlgorithmE1EjEvPT1_S3_j,"axG",@progbits,_Z19reduce_valid_kernelILj255ELN6hipcub20BlockReduceAlgorithmE1EjEvPT1_S3_j,comdat
	.protected	_Z19reduce_valid_kernelILj255ELN6hipcub20BlockReduceAlgorithmE1EjEvPT1_S3_j ; -- Begin function _Z19reduce_valid_kernelILj255ELN6hipcub20BlockReduceAlgorithmE1EjEvPT1_S3_j
	.globl	_Z19reduce_valid_kernelILj255ELN6hipcub20BlockReduceAlgorithmE1EjEvPT1_S3_j
	.p2align	8
	.type	_Z19reduce_valid_kernelILj255ELN6hipcub20BlockReduceAlgorithmE1EjEvPT1_S3_j,@function
_Z19reduce_valid_kernelILj255ELN6hipcub20BlockReduceAlgorithmE1EjEvPT1_S3_j: ; @_Z19reduce_valid_kernelILj255ELN6hipcub20BlockReduceAlgorithmE1EjEvPT1_S3_j
; %bb.0:
	s_load_dwordx4 s[0:3], s[4:5], 0x0
	s_load_dword s7, s[4:5], 0x10
	s_mul_i32 s4, s6, 0xff
	v_add_u32_e32 v2, s4, v0
	v_mov_b32_e32 v3, 0
	v_lshlrev_b64 v[2:3], 2, v[2:3]
	s_waitcnt lgkmcnt(0)
	v_mov_b32_e32 v1, s1
	v_add_co_u32_e32 v2, vcc, s0, v2
	v_addc_co_u32_e32 v3, vcc, v1, v3, vcc
	global_load_dword v1, v[2:3], off
	v_cmp_gt_u32_e32 vcc, s7, v0
	v_lshlrev_b32_e32 v2, 2, v0
	s_and_saveexec_b64 s[0:1], vcc
	s_cbranch_execz .LBB55_2
; %bb.1:
	s_waitcnt vmcnt(0)
	ds_write_b32 v2, v1
.LBB55_2:
	s_or_b64 exec, exec, s[0:1]
	v_cmp_gt_u32_e32 vcc, s7, v2
	s_waitcnt lgkmcnt(0)
	s_barrier
	s_and_saveexec_b64 s[0:1], vcc
	s_cbranch_execz .LBB55_10
; %bb.3:
	v_lshlrev_b32_e32 v3, 2, v2
	s_waitcnt vmcnt(0)
	ds_read_b32 v1, v3
	v_or_b32_e32 v4, 1, v2
	v_cmp_gt_u32_e32 vcc, s7, v4
	s_and_saveexec_b64 s[4:5], vcc
	s_cbranch_execz .LBB55_5
; %bb.4:
	ds_read_b32 v4, v3 offset:4
	s_waitcnt lgkmcnt(0)
	v_add_u32_e32 v1, v4, v1
.LBB55_5:
	s_or_b64 exec, exec, s[4:5]
	v_or_b32_e32 v4, 2, v2
	v_cmp_gt_u32_e32 vcc, s7, v4
	s_and_saveexec_b64 s[4:5], vcc
	s_cbranch_execz .LBB55_7
; %bb.6:
	ds_read_b32 v4, v3 offset:8
	s_waitcnt lgkmcnt(0)
	v_add_u32_e32 v1, v4, v1
.LBB55_7:
	s_or_b64 exec, exec, s[4:5]
	;; [unrolled: 10-line block ×3, first 2 shown]
	v_mbcnt_lo_u32_b32 v2, -1, 0
	v_mbcnt_hi_u32_b32 v2, -1, v2
	v_and_b32_e32 v3, 63, v2
	v_cmp_ne_u32_e32 vcc, 63, v3
	v_addc_co_u32_e32 v4, vcc, 0, v2, vcc
	v_lshlrev_b32_e32 v4, 2, v4
	s_waitcnt lgkmcnt(0)
	ds_bpermute_b32 v4, v4, v1
	s_add_i32 s7, s7, 3
	s_lshr_b32 s4, s7, 2
	v_add_u32_e32 v5, 1, v2
	v_cmp_gt_u32_e32 vcc, s4, v5
	s_waitcnt lgkmcnt(0)
	v_cndmask_b32_e32 v4, 0, v4, vcc
	v_cmp_gt_u32_e32 vcc, 62, v3
	v_add_u32_e32 v1, v4, v1
	v_cndmask_b32_e64 v4, 0, 1, vcc
	v_lshlrev_b32_e32 v4, 1, v4
	v_add_lshl_u32 v4, v4, v2, 2
	ds_bpermute_b32 v4, v4, v1
	v_add_u32_e32 v5, 2, v2
	v_cmp_gt_u32_e32 vcc, s4, v5
	v_add_u32_e32 v5, 4, v2
	s_waitcnt lgkmcnt(0)
	v_cndmask_b32_e32 v4, 0, v4, vcc
	v_cmp_gt_u32_e32 vcc, 60, v3
	v_add_u32_e32 v1, v1, v4
	v_cndmask_b32_e64 v4, 0, 1, vcc
	v_lshlrev_b32_e32 v4, 2, v4
	v_add_lshl_u32 v4, v4, v2, 2
	ds_bpermute_b32 v4, v4, v1
	v_cmp_gt_u32_e32 vcc, s4, v5
	v_add_u32_e32 v5, 8, v2
	s_waitcnt lgkmcnt(0)
	v_cndmask_b32_e32 v4, 0, v4, vcc
	v_cmp_gt_u32_e32 vcc, 56, v3
	v_add_u32_e32 v1, v1, v4
	v_cndmask_b32_e64 v4, 0, 1, vcc
	v_lshlrev_b32_e32 v4, 3, v4
	v_add_lshl_u32 v4, v4, v2, 2
	ds_bpermute_b32 v4, v4, v1
	;; [unrolled: 10-line block ×3, first 2 shown]
	v_cmp_gt_u32_e32 vcc, s4, v5
	s_waitcnt lgkmcnt(0)
	v_cndmask_b32_e32 v4, 0, v4, vcc
	v_cmp_gt_u32_e32 vcc, 32, v3
	v_cndmask_b32_e64 v3, 0, 1, vcc
	v_lshlrev_b32_e32 v3, 5, v3
	v_add_u32_e32 v1, v1, v4
	v_add_lshl_u32 v3, v3, v2, 2
	ds_bpermute_b32 v3, v3, v1
	v_add_u32_e32 v2, 32, v2
	v_cmp_gt_u32_e32 vcc, s4, v2
	s_waitcnt lgkmcnt(0)
	v_cndmask_b32_e32 v2, 0, v3, vcc
	v_add_u32_e32 v1, v1, v2
.LBB55_10:
	s_or_b64 exec, exec, s[0:1]
	s_mov_b32 s7, 0
	v_cmp_eq_u32_e32 vcc, 0, v0
	s_and_saveexec_b64 s[0:1], vcc
	s_cbranch_execz .LBB55_12
; %bb.11:
	s_lshl_b64 s[0:1], s[6:7], 2
	s_add_u32 s0, s2, s0
	s_addc_u32 s1, s3, s1
	v_mov_b32_e32 v0, 0
	s_waitcnt vmcnt(0)
	global_store_dword v0, v1, s[0:1]
.LBB55_12:
	s_endpgm
	.section	.rodata,"a",@progbits
	.p2align	6, 0x0
	.amdhsa_kernel _Z19reduce_valid_kernelILj255ELN6hipcub20BlockReduceAlgorithmE1EjEvPT1_S3_j
		.amdhsa_group_segment_fixed_size 1020
		.amdhsa_private_segment_fixed_size 0
		.amdhsa_kernarg_size 20
		.amdhsa_user_sgpr_count 6
		.amdhsa_user_sgpr_private_segment_buffer 1
		.amdhsa_user_sgpr_dispatch_ptr 0
		.amdhsa_user_sgpr_queue_ptr 0
		.amdhsa_user_sgpr_kernarg_segment_ptr 1
		.amdhsa_user_sgpr_dispatch_id 0
		.amdhsa_user_sgpr_flat_scratch_init 0
		.amdhsa_user_sgpr_kernarg_preload_length 0
		.amdhsa_user_sgpr_kernarg_preload_offset 0
		.amdhsa_user_sgpr_private_segment_size 0
		.amdhsa_uses_dynamic_stack 0
		.amdhsa_system_sgpr_private_segment_wavefront_offset 0
		.amdhsa_system_sgpr_workgroup_id_x 1
		.amdhsa_system_sgpr_workgroup_id_y 0
		.amdhsa_system_sgpr_workgroup_id_z 0
		.amdhsa_system_sgpr_workgroup_info 0
		.amdhsa_system_vgpr_workitem_id 0
		.amdhsa_next_free_vgpr 6
		.amdhsa_next_free_sgpr 8
		.amdhsa_accum_offset 8
		.amdhsa_reserve_vcc 1
		.amdhsa_reserve_flat_scratch 0
		.amdhsa_float_round_mode_32 0
		.amdhsa_float_round_mode_16_64 0
		.amdhsa_float_denorm_mode_32 3
		.amdhsa_float_denorm_mode_16_64 3
		.amdhsa_dx10_clamp 1
		.amdhsa_ieee_mode 1
		.amdhsa_fp16_overflow 0
		.amdhsa_tg_split 0
		.amdhsa_exception_fp_ieee_invalid_op 0
		.amdhsa_exception_fp_denorm_src 0
		.amdhsa_exception_fp_ieee_div_zero 0
		.amdhsa_exception_fp_ieee_overflow 0
		.amdhsa_exception_fp_ieee_underflow 0
		.amdhsa_exception_fp_ieee_inexact 0
		.amdhsa_exception_int_div_zero 0
	.end_amdhsa_kernel
	.section	.text._Z19reduce_valid_kernelILj255ELN6hipcub20BlockReduceAlgorithmE1EjEvPT1_S3_j,"axG",@progbits,_Z19reduce_valid_kernelILj255ELN6hipcub20BlockReduceAlgorithmE1EjEvPT1_S3_j,comdat
.Lfunc_end55:
	.size	_Z19reduce_valid_kernelILj255ELN6hipcub20BlockReduceAlgorithmE1EjEvPT1_S3_j, .Lfunc_end55-_Z19reduce_valid_kernelILj255ELN6hipcub20BlockReduceAlgorithmE1EjEvPT1_S3_j
                                        ; -- End function
	.section	.AMDGPU.csdata,"",@progbits
; Kernel info:
; codeLenInByte = 624
; NumSgprs: 12
; NumVgprs: 6
; NumAgprs: 0
; TotalNumVgprs: 6
; ScratchSize: 0
; MemoryBound: 0
; FloatMode: 240
; IeeeMode: 1
; LDSByteSize: 1020 bytes/workgroup (compile time only)
; SGPRBlocks: 1
; VGPRBlocks: 0
; NumSGPRsForWavesPerEU: 12
; NumVGPRsForWavesPerEU: 6
; AccumOffset: 8
; Occupancy: 8
; WaveLimiterHint : 0
; COMPUTE_PGM_RSRC2:SCRATCH_EN: 0
; COMPUTE_PGM_RSRC2:USER_SGPR: 6
; COMPUTE_PGM_RSRC2:TRAP_HANDLER: 0
; COMPUTE_PGM_RSRC2:TGID_X_EN: 1
; COMPUTE_PGM_RSRC2:TGID_Y_EN: 0
; COMPUTE_PGM_RSRC2:TGID_Z_EN: 0
; COMPUTE_PGM_RSRC2:TIDIG_COMP_CNT: 0
; COMPUTE_PGM_RSRC3_GFX90A:ACCUM_OFFSET: 1
; COMPUTE_PGM_RSRC3_GFX90A:TG_SPLIT: 0
	.section	.text._Z19reduce_valid_kernelILj162ELN6hipcub20BlockReduceAlgorithmE1EsEvPT1_S3_j,"axG",@progbits,_Z19reduce_valid_kernelILj162ELN6hipcub20BlockReduceAlgorithmE1EsEvPT1_S3_j,comdat
	.protected	_Z19reduce_valid_kernelILj162ELN6hipcub20BlockReduceAlgorithmE1EsEvPT1_S3_j ; -- Begin function _Z19reduce_valid_kernelILj162ELN6hipcub20BlockReduceAlgorithmE1EsEvPT1_S3_j
	.globl	_Z19reduce_valid_kernelILj162ELN6hipcub20BlockReduceAlgorithmE1EsEvPT1_S3_j
	.p2align	8
	.type	_Z19reduce_valid_kernelILj162ELN6hipcub20BlockReduceAlgorithmE1EsEvPT1_S3_j,@function
_Z19reduce_valid_kernelILj162ELN6hipcub20BlockReduceAlgorithmE1EsEvPT1_S3_j: ; @_Z19reduce_valid_kernelILj162ELN6hipcub20BlockReduceAlgorithmE1EsEvPT1_S3_j
; %bb.0:
	s_load_dwordx4 s[8:11], s[4:5], 0x0
	s_load_dword s2, s[4:5], 0x10
	s_mul_i32 s0, s6, 0xa2
	v_add_u32_e32 v2, s0, v0
	v_mov_b32_e32 v3, 0
	v_lshlrev_b64 v[2:3], 1, v[2:3]
	s_waitcnt lgkmcnt(0)
	v_mov_b32_e32 v1, s9
	v_add_co_u32_e32 v2, vcc, s8, v2
	v_addc_co_u32_e32 v3, vcc, v1, v3, vcc
	global_load_ushort v1, v[2:3], off
	v_cmp_gt_u32_e32 vcc, s2, v0
	s_and_saveexec_b64 s[0:1], vcc
	s_cbranch_execz .LBB56_2
; %bb.1:
	v_lshlrev_b32_e32 v2, 1, v0
	s_waitcnt vmcnt(0)
	ds_write_b16 v2, v1
.LBB56_2:
	s_or_b64 exec, exec, s[0:1]
	v_mul_u32_u24_e32 v2, 3, v0
	v_cmp_gt_u32_e32 vcc, s2, v2
	s_waitcnt lgkmcnt(0)
	s_barrier
	s_and_saveexec_b64 s[8:9], vcc
	s_cbranch_execz .LBB56_8
; %bb.3:
	v_lshlrev_b32_e32 v3, 1, v2
	s_waitcnt vmcnt(0)
	ds_read_u16 v1, v3
	v_add_u32_e32 v4, 1, v2
	v_cmp_gt_u32_e32 vcc, s2, v4
	s_and_saveexec_b64 s[0:1], vcc
	s_cbranch_execz .LBB56_5
; %bb.4:
	ds_read_u16 v4, v3 offset:2
	s_waitcnt lgkmcnt(0)
	v_add_u16_e32 v1, v4, v1
.LBB56_5:
	s_or_b64 exec, exec, s[0:1]
	v_add_u32_e32 v2, 2, v2
	v_cmp_gt_u32_e32 vcc, s2, v2
	s_and_saveexec_b64 s[0:1], vcc
	s_cbranch_execz .LBB56_7
; %bb.6:
	ds_read_u16 v2, v3 offset:4
	s_waitcnt lgkmcnt(0)
	v_add_u16_e32 v1, v2, v1
.LBB56_7:
	s_or_b64 exec, exec, s[0:1]
	v_mbcnt_lo_u32_b32 v2, -1, 0
	v_mbcnt_hi_u32_b32 v2, -1, v2
	v_and_b32_e32 v3, 63, v2
	v_cmp_ne_u32_e32 vcc, 63, v3
	v_addc_co_u32_e32 v5, vcc, 0, v2, vcc
	s_waitcnt lgkmcnt(0)
	v_and_b32_e32 v4, 0xffff, v1
	v_lshlrev_b32_e32 v5, 2, v5
	ds_bpermute_b32 v5, v5, v4
	s_add_i32 s2, s2, 2
	s_mul_hi_u32 s0, s2, 0xaaaaaaab
	s_lshr_b32 s7, s0, 1
	v_add_u32_e32 v6, 1, v2
	v_cmp_gt_u32_e64 s[0:1], 62, v3
	v_cmp_gt_u32_e32 vcc, s7, v6
	v_cndmask_b32_e64 v6, 0, 1, s[0:1]
	s_waitcnt lgkmcnt(0)
	v_add_u16_e32 v5, v1, v5
	v_lshlrev_b32_e32 v6, 1, v6
	v_cndmask_b32_e32 v4, v4, v5, vcc
	v_add_lshl_u32 v6, v6, v2, 2
	ds_bpermute_b32 v6, v6, v4
	v_add_u32_e32 v7, 2, v2
	v_cmp_gt_u32_e64 s[2:3], 60, v3
	v_cndmask_b32_e32 v5, v1, v5, vcc
	v_cmp_gt_u32_e64 s[0:1], s7, v7
	v_cndmask_b32_e64 v7, 0, 1, s[2:3]
	s_waitcnt lgkmcnt(0)
	v_add_u16_e32 v6, v5, v6
	v_lshlrev_b32_e32 v7, 2, v7
	v_cndmask_b32_e64 v4, v4, v6, s[0:1]
	v_add_lshl_u32 v7, v7, v2, 2
	ds_bpermute_b32 v7, v7, v4
	v_cndmask_b32_e64 v5, v5, v6, s[0:1]
	v_add_u32_e32 v6, 4, v2
	v_cmp_gt_u32_e64 s[4:5], 56, v3
	v_cmp_gt_u32_e64 s[2:3], s7, v6
	v_cndmask_b32_e64 v6, 0, 1, s[4:5]
	s_waitcnt lgkmcnt(0)
	v_add_u16_e32 v7, v5, v7
	v_lshlrev_b32_e32 v6, 3, v6
	v_cndmask_b32_e64 v4, v4, v7, s[2:3]
	v_add_lshl_u32 v6, v6, v2, 2
	ds_bpermute_b32 v6, v6, v4
	s_or_b64 s[4:5], vcc, s[0:1]
	v_cndmask_b32_e64 v5, v5, v7, s[2:3]
	v_add_u32_e32 v7, 8, v2
	v_cmp_gt_u32_e64 s[0:1], 48, v3
	v_cmp_gt_u32_e32 vcc, s7, v7
	v_cndmask_b32_e64 v7, 0, 1, s[0:1]
	s_waitcnt lgkmcnt(0)
	v_add_u16_e32 v6, v5, v6
	v_lshlrev_b32_e32 v7, 4, v7
	v_cndmask_b32_e32 v4, v4, v6, vcc
	v_add_lshl_u32 v7, v7, v2, 2
	ds_bpermute_b32 v7, v7, v4
	s_or_b64 s[0:1], s[2:3], s[4:5]
	s_or_b64 s[2:3], vcc, s[0:1]
	v_cmp_gt_u32_e64 s[0:1], 32, v3
	v_cndmask_b32_e32 v5, v5, v6, vcc
	v_add_u32_e32 v6, 16, v2
	v_cndmask_b32_e64 v3, 0, 1, s[0:1]
	s_waitcnt lgkmcnt(0)
	v_add_u16_e32 v7, v5, v7
	v_cmp_gt_u32_e32 vcc, s7, v6
	v_lshlrev_b32_e32 v3, 5, v3
	v_cndmask_b32_e32 v4, v4, v7, vcc
	v_add_lshl_u32 v3, v3, v2, 2
	ds_bpermute_b32 v3, v3, v4
	v_add_u32_e32 v2, 32, v2
	s_or_b64 s[0:1], vcc, s[2:3]
	v_cndmask_b32_e32 v4, v5, v7, vcc
	v_cmp_gt_u32_e32 vcc, s7, v2
	s_waitcnt lgkmcnt(0)
	v_cndmask_b32_e32 v2, 0, v3, vcc
	v_add_u16_e32 v2, v4, v2
	s_or_b64 vcc, vcc, s[0:1]
	v_cndmask_b32_e32 v1, v1, v2, vcc
.LBB56_8:
	s_or_b64 exec, exec, s[8:9]
	s_mov_b32 s7, 0
	v_cmp_eq_u32_e32 vcc, 0, v0
	s_and_saveexec_b64 s[0:1], vcc
	s_cbranch_execz .LBB56_10
; %bb.9:
	s_lshl_b64 s[0:1], s[6:7], 1
	s_add_u32 s0, s10, s0
	s_addc_u32 s1, s11, s1
	v_mov_b32_e32 v0, 0
	s_waitcnt vmcnt(0)
	global_store_short v0, v1, s[0:1]
.LBB56_10:
	s_endpgm
	.section	.rodata,"a",@progbits
	.p2align	6, 0x0
	.amdhsa_kernel _Z19reduce_valid_kernelILj162ELN6hipcub20BlockReduceAlgorithmE1EsEvPT1_S3_j
		.amdhsa_group_segment_fixed_size 324
		.amdhsa_private_segment_fixed_size 0
		.amdhsa_kernarg_size 20
		.amdhsa_user_sgpr_count 6
		.amdhsa_user_sgpr_private_segment_buffer 1
		.amdhsa_user_sgpr_dispatch_ptr 0
		.amdhsa_user_sgpr_queue_ptr 0
		.amdhsa_user_sgpr_kernarg_segment_ptr 1
		.amdhsa_user_sgpr_dispatch_id 0
		.amdhsa_user_sgpr_flat_scratch_init 0
		.amdhsa_user_sgpr_kernarg_preload_length 0
		.amdhsa_user_sgpr_kernarg_preload_offset 0
		.amdhsa_user_sgpr_private_segment_size 0
		.amdhsa_uses_dynamic_stack 0
		.amdhsa_system_sgpr_private_segment_wavefront_offset 0
		.amdhsa_system_sgpr_workgroup_id_x 1
		.amdhsa_system_sgpr_workgroup_id_y 0
		.amdhsa_system_sgpr_workgroup_id_z 0
		.amdhsa_system_sgpr_workgroup_info 0
		.amdhsa_system_vgpr_workitem_id 0
		.amdhsa_next_free_vgpr 8
		.amdhsa_next_free_sgpr 12
		.amdhsa_accum_offset 8
		.amdhsa_reserve_vcc 1
		.amdhsa_reserve_flat_scratch 0
		.amdhsa_float_round_mode_32 0
		.amdhsa_float_round_mode_16_64 0
		.amdhsa_float_denorm_mode_32 3
		.amdhsa_float_denorm_mode_16_64 3
		.amdhsa_dx10_clamp 1
		.amdhsa_ieee_mode 1
		.amdhsa_fp16_overflow 0
		.amdhsa_tg_split 0
		.amdhsa_exception_fp_ieee_invalid_op 0
		.amdhsa_exception_fp_denorm_src 0
		.amdhsa_exception_fp_ieee_div_zero 0
		.amdhsa_exception_fp_ieee_overflow 0
		.amdhsa_exception_fp_ieee_underflow 0
		.amdhsa_exception_fp_ieee_inexact 0
		.amdhsa_exception_int_div_zero 0
	.end_amdhsa_kernel
	.section	.text._Z19reduce_valid_kernelILj162ELN6hipcub20BlockReduceAlgorithmE1EsEvPT1_S3_j,"axG",@progbits,_Z19reduce_valid_kernelILj162ELN6hipcub20BlockReduceAlgorithmE1EsEvPT1_S3_j,comdat
.Lfunc_end56:
	.size	_Z19reduce_valid_kernelILj162ELN6hipcub20BlockReduceAlgorithmE1EsEvPT1_S3_j, .Lfunc_end56-_Z19reduce_valid_kernelILj162ELN6hipcub20BlockReduceAlgorithmE1EsEvPT1_S3_j
                                        ; -- End function
	.section	.AMDGPU.csdata,"",@progbits
; Kernel info:
; codeLenInByte = 696
; NumSgprs: 16
; NumVgprs: 8
; NumAgprs: 0
; TotalNumVgprs: 8
; ScratchSize: 0
; MemoryBound: 0
; FloatMode: 240
; IeeeMode: 1
; LDSByteSize: 324 bytes/workgroup (compile time only)
; SGPRBlocks: 1
; VGPRBlocks: 0
; NumSGPRsForWavesPerEU: 16
; NumVGPRsForWavesPerEU: 8
; AccumOffset: 8
; Occupancy: 8
; WaveLimiterHint : 0
; COMPUTE_PGM_RSRC2:SCRATCH_EN: 0
; COMPUTE_PGM_RSRC2:USER_SGPR: 6
; COMPUTE_PGM_RSRC2:TRAP_HANDLER: 0
; COMPUTE_PGM_RSRC2:TGID_X_EN: 1
; COMPUTE_PGM_RSRC2:TGID_Y_EN: 0
; COMPUTE_PGM_RSRC2:TGID_Z_EN: 0
; COMPUTE_PGM_RSRC2:TIDIG_COMP_CNT: 0
; COMPUTE_PGM_RSRC3_GFX90A:ACCUM_OFFSET: 1
; COMPUTE_PGM_RSRC3_GFX90A:TG_SPLIT: 0
	.section	.text._Z19reduce_valid_kernelILj37ELN6hipcub20BlockReduceAlgorithmE1ElEvPT1_S3_j,"axG",@progbits,_Z19reduce_valid_kernelILj37ELN6hipcub20BlockReduceAlgorithmE1ElEvPT1_S3_j,comdat
	.protected	_Z19reduce_valid_kernelILj37ELN6hipcub20BlockReduceAlgorithmE1ElEvPT1_S3_j ; -- Begin function _Z19reduce_valid_kernelILj37ELN6hipcub20BlockReduceAlgorithmE1ElEvPT1_S3_j
	.globl	_Z19reduce_valid_kernelILj37ELN6hipcub20BlockReduceAlgorithmE1ElEvPT1_S3_j
	.p2align	8
	.type	_Z19reduce_valid_kernelILj37ELN6hipcub20BlockReduceAlgorithmE1ElEvPT1_S3_j,@function
_Z19reduce_valid_kernelILj37ELN6hipcub20BlockReduceAlgorithmE1ElEvPT1_S3_j: ; @_Z19reduce_valid_kernelILj37ELN6hipcub20BlockReduceAlgorithmE1ElEvPT1_S3_j
; %bb.0:
	s_load_dwordx4 s[8:11], s[4:5], 0x0
	s_load_dword s7, s[4:5], 0x10
	v_mad_u64_u32 v[2:3], s[0:1], s6, 37, v[0:1]
	v_mov_b32_e32 v3, 0
	v_lshlrev_b64 v[2:3], 3, v[2:3]
	s_waitcnt lgkmcnt(0)
	v_mov_b32_e32 v1, s9
	v_add_co_u32_e32 v2, vcc, s8, v2
	v_addc_co_u32_e32 v3, vcc, v1, v3, vcc
	global_load_dwordx2 v[2:3], v[2:3], off
	v_cmp_gt_u32_e32 vcc, s7, v0
	v_lshlrev_b32_e32 v1, 2, v0
	s_and_saveexec_b64 s[0:1], vcc
	s_cbranch_execz .LBB57_2
; %bb.1:
	s_waitcnt vmcnt(0)
	ds_write2_b32 v1, v2, v3 offset1:37
.LBB57_2:
	s_or_b64 exec, exec, s[0:1]
	s_waitcnt lgkmcnt(0)
	; wave barrier
	s_waitcnt lgkmcnt(0)
	s_and_saveexec_b64 s[4:5], vcc
	s_cbranch_execz .LBB57_4
; %bb.3:
	s_waitcnt vmcnt(0)
	ds_read2_b32 v[2:3], v1 offset1:37
	v_mbcnt_lo_u32_b32 v1, -1, 0
	v_mbcnt_hi_u32_b32 v1, -1, v1
	v_and_b32_e32 v4, 63, v1
	v_cmp_ne_u32_e32 vcc, 63, v4
	v_addc_co_u32_e32 v5, vcc, 0, v1, vcc
	v_lshlrev_b32_e32 v5, 2, v5
	s_waitcnt lgkmcnt(0)
	ds_bpermute_b32 v6, v5, v2
	ds_bpermute_b32 v5, v5, v3
	v_add_u32_e32 v7, 1, v1
	v_cmp_gt_u32_e64 s[0:1], 62, v4
	v_add_u32_e32 v10, 2, v1
	s_waitcnt lgkmcnt(1)
	v_add_co_u32_e32 v6, vcc, v2, v6
	v_addc_co_u32_e32 v8, vcc, 0, v3, vcc
	v_add_co_u32_e32 v9, vcc, 0, v6
	s_waitcnt lgkmcnt(0)
	v_addc_co_u32_e32 v5, vcc, v5, v8, vcc
	v_cmp_gt_u32_e32 vcc, s7, v7
	v_cndmask_b32_e64 v7, 0, 1, s[0:1]
	v_lshlrev_b32_e32 v7, 1, v7
	v_cndmask_b32_e32 v6, v2, v6, vcc
	v_add_lshl_u32 v7, v7, v1, 2
	v_cndmask_b32_e32 v5, v3, v5, vcc
	ds_bpermute_b32 v8, v7, v6
	ds_bpermute_b32 v7, v7, v5
	v_cndmask_b32_e32 v9, v2, v9, vcc
	v_cmp_gt_u32_e64 s[2:3], 60, v4
	s_waitcnt lgkmcnt(1)
	v_add_co_u32_e64 v8, s[0:1], v8, v9
	s_waitcnt lgkmcnt(0)
	v_addc_co_u32_e64 v7, s[0:1], v7, v5, s[0:1]
	v_cmp_gt_u32_e64 s[0:1], s7, v10
	v_cndmask_b32_e64 v5, v5, v7, s[0:1]
	v_cndmask_b32_e64 v6, v6, v8, s[0:1]
	;; [unrolled: 1-line block ×4, first 2 shown]
	v_lshlrev_b32_e32 v8, 2, v8
	v_add_lshl_u32 v8, v8, v1, 2
	ds_bpermute_b32 v9, v8, v6
	ds_bpermute_b32 v8, v8, v5
	s_or_b64 s[2:3], vcc, s[0:1]
	v_add_u32_e32 v10, 4, v1
	v_cmp_gt_u32_e64 s[0:1], 56, v4
	s_waitcnt lgkmcnt(1)
	v_add_co_u32_e32 v9, vcc, v9, v7
	s_waitcnt lgkmcnt(0)
	v_addc_co_u32_e32 v8, vcc, v8, v5, vcc
	v_cmp_gt_u32_e32 vcc, s7, v10
	v_cndmask_b32_e32 v5, v5, v8, vcc
	v_cndmask_b32_e64 v8, 0, 1, s[0:1]
	v_lshlrev_b32_e32 v8, 3, v8
	v_cndmask_b32_e32 v6, v6, v9, vcc
	v_add_lshl_u32 v8, v8, v1, 2
	v_cndmask_b32_e32 v7, v7, v9, vcc
	ds_bpermute_b32 v9, v8, v6
	ds_bpermute_b32 v8, v8, v5
	s_or_b64 s[2:3], vcc, s[2:3]
	v_add_u32_e32 v10, 8, v1
	v_cmp_gt_u32_e64 s[0:1], 48, v4
	s_waitcnt lgkmcnt(1)
	v_add_co_u32_e32 v9, vcc, v9, v7
	s_waitcnt lgkmcnt(0)
	v_addc_co_u32_e32 v8, vcc, v8, v5, vcc
	v_cmp_gt_u32_e32 vcc, s7, v10
	v_cndmask_b32_e32 v5, v5, v8, vcc
	v_cndmask_b32_e64 v8, 0, 1, s[0:1]
	v_lshlrev_b32_e32 v8, 4, v8
	v_cndmask_b32_e32 v6, v6, v9, vcc
	v_add_lshl_u32 v8, v8, v1, 2
	v_cndmask_b32_e32 v7, v7, v9, vcc
	ds_bpermute_b32 v9, v8, v6
	ds_bpermute_b32 v8, v8, v5
	s_or_b64 s[0:1], vcc, s[2:3]
	v_add_u32_e32 v10, 16, v1
	s_waitcnt lgkmcnt(1)
	v_add_co_u32_e32 v9, vcc, v9, v7
	s_waitcnt lgkmcnt(0)
	v_addc_co_u32_e32 v8, vcc, v8, v5, vcc
	v_cmp_gt_u32_e32 vcc, s7, v10
	s_or_b64 s[2:3], vcc, s[0:1]
	v_cmp_gt_u32_e64 s[0:1], 32, v4
	v_cndmask_b32_e64 v4, 0, 1, s[0:1]
	v_lshlrev_b32_e32 v4, 5, v4
	v_cndmask_b32_e32 v5, v5, v8, vcc
	v_cndmask_b32_e32 v6, v6, v9, vcc
	v_add_lshl_u32 v4, v4, v1, 2
	ds_bpermute_b32 v8, v4, v5
	ds_bpermute_b32 v4, v4, v6
	v_add_u32_e32 v1, 32, v1
	v_cndmask_b32_e32 v6, v7, v9, vcc
	v_cmp_gt_u32_e32 vcc, s7, v1
	s_waitcnt lgkmcnt(1)
	v_cndmask_b32_e32 v1, 0, v8, vcc
	s_waitcnt lgkmcnt(0)
	v_cndmask_b32_e32 v4, 0, v4, vcc
	v_add_co_u32_e64 v4, s[0:1], v4, v6
	v_addc_co_u32_e64 v1, s[0:1], v1, v5, s[0:1]
	s_or_b64 vcc, vcc, s[2:3]
	v_cndmask_b32_e32 v3, v3, v1, vcc
	v_cndmask_b32_e32 v2, v2, v4, vcc
.LBB57_4:
	s_or_b64 exec, exec, s[4:5]
	s_mov_b32 s7, 0
	v_cmp_eq_u32_e32 vcc, 0, v0
	s_and_saveexec_b64 s[0:1], vcc
	s_cbranch_execz .LBB57_6
; %bb.5:
	s_lshl_b64 s[0:1], s[6:7], 3
	s_add_u32 s0, s10, s0
	s_addc_u32 s1, s11, s1
	v_mov_b32_e32 v0, 0
	s_waitcnt vmcnt(0)
	global_store_dwordx2 v0, v[2:3], s[0:1]
.LBB57_6:
	s_endpgm
	.section	.rodata,"a",@progbits
	.p2align	6, 0x0
	.amdhsa_kernel _Z19reduce_valid_kernelILj37ELN6hipcub20BlockReduceAlgorithmE1ElEvPT1_S3_j
		.amdhsa_group_segment_fixed_size 296
		.amdhsa_private_segment_fixed_size 0
		.amdhsa_kernarg_size 20
		.amdhsa_user_sgpr_count 6
		.amdhsa_user_sgpr_private_segment_buffer 1
		.amdhsa_user_sgpr_dispatch_ptr 0
		.amdhsa_user_sgpr_queue_ptr 0
		.amdhsa_user_sgpr_kernarg_segment_ptr 1
		.amdhsa_user_sgpr_dispatch_id 0
		.amdhsa_user_sgpr_flat_scratch_init 0
		.amdhsa_user_sgpr_kernarg_preload_length 0
		.amdhsa_user_sgpr_kernarg_preload_offset 0
		.amdhsa_user_sgpr_private_segment_size 0
		.amdhsa_uses_dynamic_stack 0
		.amdhsa_system_sgpr_private_segment_wavefront_offset 0
		.amdhsa_system_sgpr_workgroup_id_x 1
		.amdhsa_system_sgpr_workgroup_id_y 0
		.amdhsa_system_sgpr_workgroup_id_z 0
		.amdhsa_system_sgpr_workgroup_info 0
		.amdhsa_system_vgpr_workitem_id 0
		.amdhsa_next_free_vgpr 11
		.amdhsa_next_free_sgpr 12
		.amdhsa_accum_offset 12
		.amdhsa_reserve_vcc 1
		.amdhsa_reserve_flat_scratch 0
		.amdhsa_float_round_mode_32 0
		.amdhsa_float_round_mode_16_64 0
		.amdhsa_float_denorm_mode_32 3
		.amdhsa_float_denorm_mode_16_64 3
		.amdhsa_dx10_clamp 1
		.amdhsa_ieee_mode 1
		.amdhsa_fp16_overflow 0
		.amdhsa_tg_split 0
		.amdhsa_exception_fp_ieee_invalid_op 0
		.amdhsa_exception_fp_denorm_src 0
		.amdhsa_exception_fp_ieee_div_zero 0
		.amdhsa_exception_fp_ieee_overflow 0
		.amdhsa_exception_fp_ieee_underflow 0
		.amdhsa_exception_fp_ieee_inexact 0
		.amdhsa_exception_int_div_zero 0
	.end_amdhsa_kernel
	.section	.text._Z19reduce_valid_kernelILj37ELN6hipcub20BlockReduceAlgorithmE1ElEvPT1_S3_j,"axG",@progbits,_Z19reduce_valid_kernelILj37ELN6hipcub20BlockReduceAlgorithmE1ElEvPT1_S3_j,comdat
.Lfunc_end57:
	.size	_Z19reduce_valid_kernelILj37ELN6hipcub20BlockReduceAlgorithmE1ElEvPT1_S3_j, .Lfunc_end57-_Z19reduce_valid_kernelILj37ELN6hipcub20BlockReduceAlgorithmE1ElEvPT1_S3_j
                                        ; -- End function
	.section	.AMDGPU.csdata,"",@progbits
; Kernel info:
; codeLenInByte = 724
; NumSgprs: 16
; NumVgprs: 11
; NumAgprs: 0
; TotalNumVgprs: 11
; ScratchSize: 0
; MemoryBound: 0
; FloatMode: 240
; IeeeMode: 1
; LDSByteSize: 296 bytes/workgroup (compile time only)
; SGPRBlocks: 1
; VGPRBlocks: 1
; NumSGPRsForWavesPerEU: 16
; NumVGPRsForWavesPerEU: 11
; AccumOffset: 12
; Occupancy: 8
; WaveLimiterHint : 0
; COMPUTE_PGM_RSRC2:SCRATCH_EN: 0
; COMPUTE_PGM_RSRC2:USER_SGPR: 6
; COMPUTE_PGM_RSRC2:TRAP_HANDLER: 0
; COMPUTE_PGM_RSRC2:TGID_X_EN: 1
; COMPUTE_PGM_RSRC2:TGID_Y_EN: 0
; COMPUTE_PGM_RSRC2:TGID_Z_EN: 0
; COMPUTE_PGM_RSRC2:TIDIG_COMP_CNT: 0
; COMPUTE_PGM_RSRC3_GFX90A:ACCUM_OFFSET: 2
; COMPUTE_PGM_RSRC3_GFX90A:TG_SPLIT: 0
	.section	.text._Z19reduce_valid_kernelILj65ELN6hipcub20BlockReduceAlgorithmE1EmEvPT1_S3_j,"axG",@progbits,_Z19reduce_valid_kernelILj65ELN6hipcub20BlockReduceAlgorithmE1EmEvPT1_S3_j,comdat
	.protected	_Z19reduce_valid_kernelILj65ELN6hipcub20BlockReduceAlgorithmE1EmEvPT1_S3_j ; -- Begin function _Z19reduce_valid_kernelILj65ELN6hipcub20BlockReduceAlgorithmE1EmEvPT1_S3_j
	.globl	_Z19reduce_valid_kernelILj65ELN6hipcub20BlockReduceAlgorithmE1EmEvPT1_S3_j
	.p2align	8
	.type	_Z19reduce_valid_kernelILj65ELN6hipcub20BlockReduceAlgorithmE1EmEvPT1_S3_j,@function
_Z19reduce_valid_kernelILj65ELN6hipcub20BlockReduceAlgorithmE1EmEvPT1_S3_j: ; @_Z19reduce_valid_kernelILj65ELN6hipcub20BlockReduceAlgorithmE1EmEvPT1_S3_j
; %bb.0:
	s_load_dwordx4 s[8:11], s[4:5], 0x0
	s_load_dword s2, s[4:5], 0x10
	s_mul_i32 s0, s6, 0x41
	v_add_u32_e32 v2, s0, v0
	v_mov_b32_e32 v3, 0
	v_lshlrev_b64 v[2:3], 3, v[2:3]
	s_waitcnt lgkmcnt(0)
	v_mov_b32_e32 v1, s9
	v_add_co_u32_e32 v2, vcc, s8, v2
	v_addc_co_u32_e32 v3, vcc, v1, v3, vcc
	global_load_dwordx2 v[2:3], v[2:3], off
	v_cmp_gt_u32_e32 vcc, s2, v0
	s_and_saveexec_b64 s[0:1], vcc
	s_cbranch_execz .LBB58_2
; %bb.1:
	v_lshlrev_b32_e32 v1, 2, v0
	s_waitcnt vmcnt(0)
	ds_write2_b32 v1, v2, v3 offset1:65
.LBB58_2:
	s_or_b64 exec, exec, s[0:1]
	v_lshlrev_b32_e32 v1, 1, v0
	v_cmp_gt_u32_e32 vcc, s2, v1
	s_waitcnt lgkmcnt(0)
	s_barrier
	s_and_saveexec_b64 s[4:5], vcc
	s_cbranch_execz .LBB58_6
; %bb.3:
	v_lshlrev_b32_e32 v4, 2, v1
	s_waitcnt vmcnt(0)
	ds_read2_b32 v[2:3], v4 offset1:65
	v_or_b32_e32 v1, 1, v1
	v_cmp_gt_u32_e32 vcc, s2, v1
	s_and_saveexec_b64 s[0:1], vcc
	s_cbranch_execz .LBB58_5
; %bb.4:
	ds_read2_b32 v[4:5], v4 offset0:1 offset1:66
	s_waitcnt lgkmcnt(0)
	v_add_co_u32_e32 v2, vcc, v4, v2
	v_addc_co_u32_e32 v3, vcc, v5, v3, vcc
.LBB58_5:
	s_or_b64 exec, exec, s[0:1]
	v_mbcnt_lo_u32_b32 v1, -1, 0
	v_mbcnt_hi_u32_b32 v1, -1, v1
	v_and_b32_e32 v4, 63, v1
	v_cmp_ne_u32_e32 vcc, 63, v4
	v_addc_co_u32_e32 v5, vcc, 0, v1, vcc
	v_lshlrev_b32_e32 v5, 2, v5
	s_waitcnt lgkmcnt(0)
	ds_bpermute_b32 v6, v5, v2
	ds_bpermute_b32 v5, v5, v3
	s_add_i32 s2, s2, 1
	s_lshr_b32 s7, s2, 1
	v_add_u32_e32 v7, 1, v1
	s_waitcnt lgkmcnt(1)
	v_add_co_u32_e32 v6, vcc, v2, v6
	v_addc_co_u32_e32 v8, vcc, 0, v3, vcc
	v_add_co_u32_e32 v9, vcc, 0, v6
	s_waitcnt lgkmcnt(0)
	v_addc_co_u32_e32 v5, vcc, v5, v8, vcc
	v_cmp_gt_u32_e64 s[0:1], 62, v4
	v_cmp_gt_u32_e32 vcc, s7, v7
	v_cndmask_b32_e64 v7, 0, 1, s[0:1]
	v_lshlrev_b32_e32 v7, 1, v7
	v_cndmask_b32_e32 v6, v2, v6, vcc
	v_add_lshl_u32 v7, v7, v1, 2
	v_cndmask_b32_e32 v5, v3, v5, vcc
	ds_bpermute_b32 v8, v7, v6
	ds_bpermute_b32 v7, v7, v5
	v_cndmask_b32_e32 v9, v2, v9, vcc
	v_add_u32_e32 v10, 2, v1
	v_cmp_gt_u32_e64 s[2:3], 60, v4
	s_waitcnt lgkmcnt(1)
	v_add_co_u32_e64 v8, s[0:1], v8, v9
	s_waitcnt lgkmcnt(0)
	v_addc_co_u32_e64 v7, s[0:1], v7, v5, s[0:1]
	v_cmp_gt_u32_e64 s[0:1], s7, v10
	v_cndmask_b32_e64 v6, v6, v8, s[0:1]
	v_cndmask_b32_e64 v5, v5, v7, s[0:1]
	;; [unrolled: 1-line block ×4, first 2 shown]
	v_lshlrev_b32_e32 v8, 2, v8
	v_add_lshl_u32 v8, v8, v1, 2
	ds_bpermute_b32 v9, v8, v6
	ds_bpermute_b32 v8, v8, v5
	s_or_b64 s[2:3], vcc, s[0:1]
	v_add_u32_e32 v10, 4, v1
	v_cmp_gt_u32_e64 s[0:1], 56, v4
	s_waitcnt lgkmcnt(1)
	v_add_co_u32_e32 v9, vcc, v9, v7
	s_waitcnt lgkmcnt(0)
	v_addc_co_u32_e32 v8, vcc, v8, v5, vcc
	v_cmp_gt_u32_e32 vcc, s7, v10
	v_cndmask_b32_e32 v5, v5, v8, vcc
	v_cndmask_b32_e64 v8, 0, 1, s[0:1]
	v_lshlrev_b32_e32 v8, 3, v8
	v_cndmask_b32_e32 v6, v6, v9, vcc
	v_add_lshl_u32 v8, v8, v1, 2
	v_cndmask_b32_e32 v7, v7, v9, vcc
	ds_bpermute_b32 v9, v8, v6
	ds_bpermute_b32 v8, v8, v5
	s_or_b64 s[2:3], vcc, s[2:3]
	v_add_u32_e32 v10, 8, v1
	v_cmp_gt_u32_e64 s[0:1], 48, v4
	s_waitcnt lgkmcnt(1)
	v_add_co_u32_e32 v9, vcc, v9, v7
	s_waitcnt lgkmcnt(0)
	v_addc_co_u32_e32 v8, vcc, v8, v5, vcc
	v_cmp_gt_u32_e32 vcc, s7, v10
	v_cndmask_b32_e32 v5, v5, v8, vcc
	v_cndmask_b32_e64 v8, 0, 1, s[0:1]
	v_lshlrev_b32_e32 v8, 4, v8
	v_cndmask_b32_e32 v6, v6, v9, vcc
	v_add_lshl_u32 v8, v8, v1, 2
	v_cndmask_b32_e32 v7, v7, v9, vcc
	ds_bpermute_b32 v9, v8, v6
	ds_bpermute_b32 v8, v8, v5
	s_or_b64 s[0:1], vcc, s[2:3]
	v_add_u32_e32 v10, 16, v1
	s_waitcnt lgkmcnt(1)
	v_add_co_u32_e32 v9, vcc, v9, v7
	s_waitcnt lgkmcnt(0)
	v_addc_co_u32_e32 v8, vcc, v8, v5, vcc
	v_cmp_gt_u32_e32 vcc, s7, v10
	s_or_b64 s[2:3], vcc, s[0:1]
	v_cmp_gt_u32_e64 s[0:1], 32, v4
	v_cndmask_b32_e64 v4, 0, 1, s[0:1]
	v_lshlrev_b32_e32 v4, 5, v4
	v_cndmask_b32_e32 v6, v6, v9, vcc
	v_add_lshl_u32 v4, v4, v1, 2
	v_cndmask_b32_e32 v5, v5, v8, vcc
	ds_bpermute_b32 v8, v4, v5
	ds_bpermute_b32 v4, v4, v6
	v_add_u32_e32 v1, 32, v1
	v_cndmask_b32_e32 v6, v7, v9, vcc
	v_cmp_gt_u32_e32 vcc, s7, v1
	s_waitcnt lgkmcnt(1)
	v_cndmask_b32_e32 v1, 0, v8, vcc
	s_waitcnt lgkmcnt(0)
	v_cndmask_b32_e32 v4, 0, v4, vcc
	v_add_co_u32_e64 v4, s[0:1], v4, v6
	v_addc_co_u32_e64 v1, s[0:1], v1, v5, s[0:1]
	s_or_b64 vcc, vcc, s[2:3]
	v_cndmask_b32_e32 v3, v3, v1, vcc
	v_cndmask_b32_e32 v2, v2, v4, vcc
.LBB58_6:
	s_or_b64 exec, exec, s[4:5]
	s_mov_b32 s7, 0
	v_cmp_eq_u32_e32 vcc, 0, v0
	s_and_saveexec_b64 s[0:1], vcc
	s_cbranch_execz .LBB58_8
; %bb.7:
	s_lshl_b64 s[0:1], s[6:7], 3
	s_add_u32 s0, s10, s0
	s_addc_u32 s1, s11, s1
	v_mov_b32_e32 v0, 0
	s_waitcnt vmcnt(0)
	global_store_dwordx2 v0, v[2:3], s[0:1]
.LBB58_8:
	s_endpgm
	.section	.rodata,"a",@progbits
	.p2align	6, 0x0
	.amdhsa_kernel _Z19reduce_valid_kernelILj65ELN6hipcub20BlockReduceAlgorithmE1EmEvPT1_S3_j
		.amdhsa_group_segment_fixed_size 520
		.amdhsa_private_segment_fixed_size 0
		.amdhsa_kernarg_size 20
		.amdhsa_user_sgpr_count 6
		.amdhsa_user_sgpr_private_segment_buffer 1
		.amdhsa_user_sgpr_dispatch_ptr 0
		.amdhsa_user_sgpr_queue_ptr 0
		.amdhsa_user_sgpr_kernarg_segment_ptr 1
		.amdhsa_user_sgpr_dispatch_id 0
		.amdhsa_user_sgpr_flat_scratch_init 0
		.amdhsa_user_sgpr_kernarg_preload_length 0
		.amdhsa_user_sgpr_kernarg_preload_offset 0
		.amdhsa_user_sgpr_private_segment_size 0
		.amdhsa_uses_dynamic_stack 0
		.amdhsa_system_sgpr_private_segment_wavefront_offset 0
		.amdhsa_system_sgpr_workgroup_id_x 1
		.amdhsa_system_sgpr_workgroup_id_y 0
		.amdhsa_system_sgpr_workgroup_id_z 0
		.amdhsa_system_sgpr_workgroup_info 0
		.amdhsa_system_vgpr_workitem_id 0
		.amdhsa_next_free_vgpr 11
		.amdhsa_next_free_sgpr 12
		.amdhsa_accum_offset 12
		.amdhsa_reserve_vcc 1
		.amdhsa_reserve_flat_scratch 0
		.amdhsa_float_round_mode_32 0
		.amdhsa_float_round_mode_16_64 0
		.amdhsa_float_denorm_mode_32 3
		.amdhsa_float_denorm_mode_16_64 3
		.amdhsa_dx10_clamp 1
		.amdhsa_ieee_mode 1
		.amdhsa_fp16_overflow 0
		.amdhsa_tg_split 0
		.amdhsa_exception_fp_ieee_invalid_op 0
		.amdhsa_exception_fp_denorm_src 0
		.amdhsa_exception_fp_ieee_div_zero 0
		.amdhsa_exception_fp_ieee_overflow 0
		.amdhsa_exception_fp_ieee_underflow 0
		.amdhsa_exception_fp_ieee_inexact 0
		.amdhsa_exception_int_div_zero 0
	.end_amdhsa_kernel
	.section	.text._Z19reduce_valid_kernelILj65ELN6hipcub20BlockReduceAlgorithmE1EmEvPT1_S3_j,"axG",@progbits,_Z19reduce_valid_kernelILj65ELN6hipcub20BlockReduceAlgorithmE1EmEvPT1_S3_j,comdat
.Lfunc_end58:
	.size	_Z19reduce_valid_kernelILj65ELN6hipcub20BlockReduceAlgorithmE1EmEvPT1_S3_j, .Lfunc_end58-_Z19reduce_valid_kernelILj65ELN6hipcub20BlockReduceAlgorithmE1EmEvPT1_S3_j
                                        ; -- End function
	.section	.AMDGPU.csdata,"",@progbits
; Kernel info:
; codeLenInByte = 788
; NumSgprs: 16
; NumVgprs: 11
; NumAgprs: 0
; TotalNumVgprs: 11
; ScratchSize: 0
; MemoryBound: 0
; FloatMode: 240
; IeeeMode: 1
; LDSByteSize: 520 bytes/workgroup (compile time only)
; SGPRBlocks: 1
; VGPRBlocks: 1
; NumSGPRsForWavesPerEU: 16
; NumVGPRsForWavesPerEU: 11
; AccumOffset: 12
; Occupancy: 8
; WaveLimiterHint : 0
; COMPUTE_PGM_RSRC2:SCRATCH_EN: 0
; COMPUTE_PGM_RSRC2:USER_SGPR: 6
; COMPUTE_PGM_RSRC2:TRAP_HANDLER: 0
; COMPUTE_PGM_RSRC2:TGID_X_EN: 1
; COMPUTE_PGM_RSRC2:TGID_Y_EN: 0
; COMPUTE_PGM_RSRC2:TGID_Z_EN: 0
; COMPUTE_PGM_RSRC2:TIDIG_COMP_CNT: 0
; COMPUTE_PGM_RSRC3_GFX90A:ACCUM_OFFSET: 2
; COMPUTE_PGM_RSRC3_GFX90A:TG_SPLIT: 0
	.section	.text._Z19reduce_valid_kernelILj1024ELN6hipcub20BlockReduceAlgorithmE1EiEvPT1_S3_j,"axG",@progbits,_Z19reduce_valid_kernelILj1024ELN6hipcub20BlockReduceAlgorithmE1EiEvPT1_S3_j,comdat
	.protected	_Z19reduce_valid_kernelILj1024ELN6hipcub20BlockReduceAlgorithmE1EiEvPT1_S3_j ; -- Begin function _Z19reduce_valid_kernelILj1024ELN6hipcub20BlockReduceAlgorithmE1EiEvPT1_S3_j
	.globl	_Z19reduce_valid_kernelILj1024ELN6hipcub20BlockReduceAlgorithmE1EiEvPT1_S3_j
	.p2align	8
	.type	_Z19reduce_valid_kernelILj1024ELN6hipcub20BlockReduceAlgorithmE1EiEvPT1_S3_j,@function
_Z19reduce_valid_kernelILj1024ELN6hipcub20BlockReduceAlgorithmE1EiEvPT1_S3_j: ; @_Z19reduce_valid_kernelILj1024ELN6hipcub20BlockReduceAlgorithmE1EiEvPT1_S3_j
; %bb.0:
	s_load_dwordx4 s[0:3], s[4:5], 0x0
	s_load_dword s7, s[4:5], 0x10
	v_lshl_or_b32 v2, s6, 10, v0
	v_mov_b32_e32 v3, 0
	v_lshlrev_b64 v[2:3], 2, v[2:3]
	s_waitcnt lgkmcnt(0)
	v_mov_b32_e32 v1, s1
	v_add_co_u32_e32 v2, vcc, s0, v2
	v_addc_co_u32_e32 v3, vcc, v1, v3, vcc
	global_load_dword v1, v[2:3], off
	v_cmp_gt_u32_e32 vcc, s7, v0
	s_and_saveexec_b64 s[0:1], vcc
	s_cbranch_execz .LBB59_2
; %bb.1:
	v_lshlrev_b32_e32 v2, 2, v0
	s_waitcnt vmcnt(0)
	ds_write_b32 v2, v1
.LBB59_2:
	s_or_b64 exec, exec, s[0:1]
	v_lshlrev_b32_e32 v2, 4, v0
	v_cmp_gt_u32_e32 vcc, s7, v2
	s_waitcnt lgkmcnt(0)
	s_barrier
	s_and_saveexec_b64 s[0:1], vcc
	s_cbranch_execz .LBB59_34
; %bb.3:
	v_lshlrev_b32_e32 v3, 2, v2
	s_waitcnt vmcnt(0)
	ds_read_b32 v1, v3
	v_or_b32_e32 v4, 1, v2
	v_cmp_gt_u32_e32 vcc, s7, v4
	s_and_saveexec_b64 s[4:5], vcc
	s_cbranch_execz .LBB59_5
; %bb.4:
	ds_read_b32 v4, v3 offset:4
	s_waitcnt lgkmcnt(0)
	v_add_u32_e32 v1, v4, v1
.LBB59_5:
	s_or_b64 exec, exec, s[4:5]
	v_or_b32_e32 v4, 2, v2
	v_cmp_gt_u32_e32 vcc, s7, v4
	s_and_saveexec_b64 s[4:5], vcc
	s_cbranch_execz .LBB59_7
; %bb.6:
	ds_read_b32 v4, v3 offset:8
	s_waitcnt lgkmcnt(0)
	v_add_u32_e32 v1, v4, v1
.LBB59_7:
	s_or_b64 exec, exec, s[4:5]
	v_or_b32_e32 v4, 3, v2
	v_cmp_gt_u32_e32 vcc, s7, v4
	s_and_saveexec_b64 s[4:5], vcc
	s_cbranch_execz .LBB59_9
; %bb.8:
	ds_read_b32 v4, v3 offset:12
	s_waitcnt lgkmcnt(0)
	v_add_u32_e32 v1, v4, v1
.LBB59_9:
	s_or_b64 exec, exec, s[4:5]
	v_or_b32_e32 v4, 4, v2
	v_cmp_gt_u32_e32 vcc, s7, v4
	s_and_saveexec_b64 s[4:5], vcc
	s_cbranch_execz .LBB59_11
; %bb.10:
	ds_read_b32 v4, v3 offset:16
	s_waitcnt lgkmcnt(0)
	v_add_u32_e32 v1, v4, v1
.LBB59_11:
	s_or_b64 exec, exec, s[4:5]
	v_or_b32_e32 v4, 5, v2
	v_cmp_gt_u32_e32 vcc, s7, v4
	s_and_saveexec_b64 s[4:5], vcc
	s_cbranch_execz .LBB59_13
; %bb.12:
	ds_read_b32 v4, v3 offset:20
	s_waitcnt lgkmcnt(0)
	v_add_u32_e32 v1, v4, v1
.LBB59_13:
	s_or_b64 exec, exec, s[4:5]
	v_or_b32_e32 v4, 6, v2
	v_cmp_gt_u32_e32 vcc, s7, v4
	s_and_saveexec_b64 s[4:5], vcc
	s_cbranch_execz .LBB59_15
; %bb.14:
	ds_read_b32 v4, v3 offset:24
	s_waitcnt lgkmcnt(0)
	v_add_u32_e32 v1, v4, v1
.LBB59_15:
	s_or_b64 exec, exec, s[4:5]
	v_or_b32_e32 v4, 7, v2
	v_cmp_gt_u32_e32 vcc, s7, v4
	s_and_saveexec_b64 s[4:5], vcc
	s_cbranch_execz .LBB59_17
; %bb.16:
	ds_read_b32 v4, v3 offset:28
	s_waitcnt lgkmcnt(0)
	v_add_u32_e32 v1, v4, v1
.LBB59_17:
	s_or_b64 exec, exec, s[4:5]
	v_or_b32_e32 v4, 8, v2
	v_cmp_gt_u32_e32 vcc, s7, v4
	s_and_saveexec_b64 s[4:5], vcc
	s_cbranch_execz .LBB59_19
; %bb.18:
	ds_read_b32 v4, v3 offset:32
	s_waitcnt lgkmcnt(0)
	v_add_u32_e32 v1, v4, v1
.LBB59_19:
	s_or_b64 exec, exec, s[4:5]
	v_or_b32_e32 v4, 9, v2
	v_cmp_gt_u32_e32 vcc, s7, v4
	s_and_saveexec_b64 s[4:5], vcc
	s_cbranch_execz .LBB59_21
; %bb.20:
	ds_read_b32 v4, v3 offset:36
	s_waitcnt lgkmcnt(0)
	v_add_u32_e32 v1, v4, v1
.LBB59_21:
	s_or_b64 exec, exec, s[4:5]
	v_or_b32_e32 v4, 10, v2
	v_cmp_gt_u32_e32 vcc, s7, v4
	s_and_saveexec_b64 s[4:5], vcc
	s_cbranch_execz .LBB59_23
; %bb.22:
	ds_read_b32 v4, v3 offset:40
	s_waitcnt lgkmcnt(0)
	v_add_u32_e32 v1, v4, v1
.LBB59_23:
	s_or_b64 exec, exec, s[4:5]
	v_or_b32_e32 v4, 11, v2
	v_cmp_gt_u32_e32 vcc, s7, v4
	s_and_saveexec_b64 s[4:5], vcc
	s_cbranch_execz .LBB59_25
; %bb.24:
	ds_read_b32 v4, v3 offset:44
	s_waitcnt lgkmcnt(0)
	v_add_u32_e32 v1, v4, v1
.LBB59_25:
	s_or_b64 exec, exec, s[4:5]
	v_or_b32_e32 v4, 12, v2
	v_cmp_gt_u32_e32 vcc, s7, v4
	s_and_saveexec_b64 s[4:5], vcc
	s_cbranch_execz .LBB59_27
; %bb.26:
	ds_read_b32 v4, v3 offset:48
	s_waitcnt lgkmcnt(0)
	v_add_u32_e32 v1, v4, v1
.LBB59_27:
	s_or_b64 exec, exec, s[4:5]
	v_or_b32_e32 v4, 13, v2
	v_cmp_gt_u32_e32 vcc, s7, v4
	s_and_saveexec_b64 s[4:5], vcc
	s_cbranch_execz .LBB59_29
; %bb.28:
	ds_read_b32 v4, v3 offset:52
	s_waitcnt lgkmcnt(0)
	v_add_u32_e32 v1, v4, v1
.LBB59_29:
	s_or_b64 exec, exec, s[4:5]
	v_or_b32_e32 v4, 14, v2
	v_cmp_gt_u32_e32 vcc, s7, v4
	s_and_saveexec_b64 s[4:5], vcc
	s_cbranch_execz .LBB59_31
; %bb.30:
	ds_read_b32 v4, v3 offset:56
	s_waitcnt lgkmcnt(0)
	v_add_u32_e32 v1, v4, v1
.LBB59_31:
	s_or_b64 exec, exec, s[4:5]
	v_or_b32_e32 v2, 15, v2
	v_cmp_gt_u32_e32 vcc, s7, v2
	s_and_saveexec_b64 s[4:5], vcc
	s_cbranch_execz .LBB59_33
; %bb.32:
	ds_read_b32 v2, v3 offset:60
	s_waitcnt lgkmcnt(0)
	v_add_u32_e32 v1, v2, v1
.LBB59_33:
	s_or_b64 exec, exec, s[4:5]
	v_mbcnt_lo_u32_b32 v2, -1, 0
	v_mbcnt_hi_u32_b32 v2, -1, v2
	v_and_b32_e32 v3, 63, v2
	v_cmp_ne_u32_e32 vcc, 63, v3
	v_addc_co_u32_e32 v4, vcc, 0, v2, vcc
	v_lshlrev_b32_e32 v4, 2, v4
	s_waitcnt lgkmcnt(0)
	ds_bpermute_b32 v4, v4, v1
	s_add_i32 s7, s7, 15
	s_lshr_b32 s4, s7, 4
	v_add_u32_e32 v5, 1, v2
	v_cmp_gt_u32_e32 vcc, s4, v5
	s_waitcnt lgkmcnt(0)
	v_cndmask_b32_e32 v4, 0, v4, vcc
	v_cmp_gt_u32_e32 vcc, 62, v3
	v_add_u32_e32 v1, v4, v1
	v_cndmask_b32_e64 v4, 0, 1, vcc
	v_lshlrev_b32_e32 v4, 1, v4
	v_add_lshl_u32 v4, v4, v2, 2
	ds_bpermute_b32 v4, v4, v1
	v_add_u32_e32 v5, 2, v2
	v_cmp_gt_u32_e32 vcc, s4, v5
	v_add_u32_e32 v5, 4, v2
	s_waitcnt lgkmcnt(0)
	v_cndmask_b32_e32 v4, 0, v4, vcc
	v_cmp_gt_u32_e32 vcc, 60, v3
	v_add_u32_e32 v1, v1, v4
	v_cndmask_b32_e64 v4, 0, 1, vcc
	v_lshlrev_b32_e32 v4, 2, v4
	v_add_lshl_u32 v4, v4, v2, 2
	ds_bpermute_b32 v4, v4, v1
	v_cmp_gt_u32_e32 vcc, s4, v5
	v_add_u32_e32 v5, 8, v2
	s_waitcnt lgkmcnt(0)
	v_cndmask_b32_e32 v4, 0, v4, vcc
	v_cmp_gt_u32_e32 vcc, 56, v3
	v_add_u32_e32 v1, v1, v4
	v_cndmask_b32_e64 v4, 0, 1, vcc
	v_lshlrev_b32_e32 v4, 3, v4
	v_add_lshl_u32 v4, v4, v2, 2
	ds_bpermute_b32 v4, v4, v1
	;; [unrolled: 10-line block ×3, first 2 shown]
	v_cmp_gt_u32_e32 vcc, s4, v5
	s_waitcnt lgkmcnt(0)
	v_cndmask_b32_e32 v4, 0, v4, vcc
	v_cmp_gt_u32_e32 vcc, 32, v3
	v_cndmask_b32_e64 v3, 0, 1, vcc
	v_lshlrev_b32_e32 v3, 5, v3
	v_add_u32_e32 v1, v1, v4
	v_add_lshl_u32 v3, v3, v2, 2
	ds_bpermute_b32 v3, v3, v1
	v_add_u32_e32 v2, 32, v2
	v_cmp_gt_u32_e32 vcc, s4, v2
	s_waitcnt lgkmcnt(0)
	v_cndmask_b32_e32 v2, 0, v3, vcc
	v_add_u32_e32 v1, v1, v2
.LBB59_34:
	s_or_b64 exec, exec, s[0:1]
	s_mov_b32 s7, 0
	v_cmp_eq_u32_e32 vcc, 0, v0
	s_and_saveexec_b64 s[0:1], vcc
	s_cbranch_execz .LBB59_36
; %bb.35:
	s_lshl_b64 s[0:1], s[6:7], 2
	s_add_u32 s0, s2, s0
	s_addc_u32 s1, s3, s1
	v_mov_b32_e32 v0, 0
	s_waitcnt vmcnt(0)
	global_store_dword v0, v1, s[0:1]
.LBB59_36:
	s_endpgm
	.section	.rodata,"a",@progbits
	.p2align	6, 0x0
	.amdhsa_kernel _Z19reduce_valid_kernelILj1024ELN6hipcub20BlockReduceAlgorithmE1EiEvPT1_S3_j
		.amdhsa_group_segment_fixed_size 4096
		.amdhsa_private_segment_fixed_size 0
		.amdhsa_kernarg_size 20
		.amdhsa_user_sgpr_count 6
		.amdhsa_user_sgpr_private_segment_buffer 1
		.amdhsa_user_sgpr_dispatch_ptr 0
		.amdhsa_user_sgpr_queue_ptr 0
		.amdhsa_user_sgpr_kernarg_segment_ptr 1
		.amdhsa_user_sgpr_dispatch_id 0
		.amdhsa_user_sgpr_flat_scratch_init 0
		.amdhsa_user_sgpr_kernarg_preload_length 0
		.amdhsa_user_sgpr_kernarg_preload_offset 0
		.amdhsa_user_sgpr_private_segment_size 0
		.amdhsa_uses_dynamic_stack 0
		.amdhsa_system_sgpr_private_segment_wavefront_offset 0
		.amdhsa_system_sgpr_workgroup_id_x 1
		.amdhsa_system_sgpr_workgroup_id_y 0
		.amdhsa_system_sgpr_workgroup_id_z 0
		.amdhsa_system_sgpr_workgroup_info 0
		.amdhsa_system_vgpr_workitem_id 0
		.amdhsa_next_free_vgpr 6
		.amdhsa_next_free_sgpr 8
		.amdhsa_accum_offset 8
		.amdhsa_reserve_vcc 1
		.amdhsa_reserve_flat_scratch 0
		.amdhsa_float_round_mode_32 0
		.amdhsa_float_round_mode_16_64 0
		.amdhsa_float_denorm_mode_32 3
		.amdhsa_float_denorm_mode_16_64 3
		.amdhsa_dx10_clamp 1
		.amdhsa_ieee_mode 1
		.amdhsa_fp16_overflow 0
		.amdhsa_tg_split 0
		.amdhsa_exception_fp_ieee_invalid_op 0
		.amdhsa_exception_fp_denorm_src 0
		.amdhsa_exception_fp_ieee_div_zero 0
		.amdhsa_exception_fp_ieee_overflow 0
		.amdhsa_exception_fp_ieee_underflow 0
		.amdhsa_exception_fp_ieee_inexact 0
		.amdhsa_exception_int_div_zero 0
	.end_amdhsa_kernel
	.section	.text._Z19reduce_valid_kernelILj1024ELN6hipcub20BlockReduceAlgorithmE1EiEvPT1_S3_j,"axG",@progbits,_Z19reduce_valid_kernelILj1024ELN6hipcub20BlockReduceAlgorithmE1EiEvPT1_S3_j,comdat
.Lfunc_end59:
	.size	_Z19reduce_valid_kernelILj1024ELN6hipcub20BlockReduceAlgorithmE1EiEvPT1_S3_j, .Lfunc_end59-_Z19reduce_valid_kernelILj1024ELN6hipcub20BlockReduceAlgorithmE1EiEvPT1_S3_j
                                        ; -- End function
	.section	.AMDGPU.csdata,"",@progbits
; Kernel info:
; codeLenInByte = 1056
; NumSgprs: 12
; NumVgprs: 6
; NumAgprs: 0
; TotalNumVgprs: 6
; ScratchSize: 0
; MemoryBound: 0
; FloatMode: 240
; IeeeMode: 1
; LDSByteSize: 4096 bytes/workgroup (compile time only)
; SGPRBlocks: 1
; VGPRBlocks: 0
; NumSGPRsForWavesPerEU: 12
; NumVGPRsForWavesPerEU: 6
; AccumOffset: 8
; Occupancy: 8
; WaveLimiterHint : 0
; COMPUTE_PGM_RSRC2:SCRATCH_EN: 0
; COMPUTE_PGM_RSRC2:USER_SGPR: 6
; COMPUTE_PGM_RSRC2:TRAP_HANDLER: 0
; COMPUTE_PGM_RSRC2:TGID_X_EN: 1
; COMPUTE_PGM_RSRC2:TGID_Y_EN: 0
; COMPUTE_PGM_RSRC2:TGID_Z_EN: 0
; COMPUTE_PGM_RSRC2:TIDIG_COMP_CNT: 0
; COMPUTE_PGM_RSRC3_GFX90A:ACCUM_OFFSET: 1
; COMPUTE_PGM_RSRC3_GFX90A:TG_SPLIT: 0
	.section	.text._Z19reduce_valid_kernelILj512ELN6hipcub20BlockReduceAlgorithmE1EiEvPT1_S3_j,"axG",@progbits,_Z19reduce_valid_kernelILj512ELN6hipcub20BlockReduceAlgorithmE1EiEvPT1_S3_j,comdat
	.protected	_Z19reduce_valid_kernelILj512ELN6hipcub20BlockReduceAlgorithmE1EiEvPT1_S3_j ; -- Begin function _Z19reduce_valid_kernelILj512ELN6hipcub20BlockReduceAlgorithmE1EiEvPT1_S3_j
	.globl	_Z19reduce_valid_kernelILj512ELN6hipcub20BlockReduceAlgorithmE1EiEvPT1_S3_j
	.p2align	8
	.type	_Z19reduce_valid_kernelILj512ELN6hipcub20BlockReduceAlgorithmE1EiEvPT1_S3_j,@function
_Z19reduce_valid_kernelILj512ELN6hipcub20BlockReduceAlgorithmE1EiEvPT1_S3_j: ; @_Z19reduce_valid_kernelILj512ELN6hipcub20BlockReduceAlgorithmE1EiEvPT1_S3_j
; %bb.0:
	s_load_dwordx4 s[0:3], s[4:5], 0x0
	s_load_dword s7, s[4:5], 0x10
	v_lshl_or_b32 v2, s6, 9, v0
	v_mov_b32_e32 v3, 0
	v_lshlrev_b64 v[2:3], 2, v[2:3]
	s_waitcnt lgkmcnt(0)
	v_mov_b32_e32 v1, s1
	v_add_co_u32_e32 v2, vcc, s0, v2
	v_addc_co_u32_e32 v3, vcc, v1, v3, vcc
	global_load_dword v1, v[2:3], off
	v_cmp_gt_u32_e32 vcc, s7, v0
	s_and_saveexec_b64 s[0:1], vcc
	s_cbranch_execz .LBB60_2
; %bb.1:
	v_lshlrev_b32_e32 v2, 2, v0
	s_waitcnt vmcnt(0)
	ds_write_b32 v2, v1
.LBB60_2:
	s_or_b64 exec, exec, s[0:1]
	v_lshlrev_b32_e32 v2, 3, v0
	v_cmp_gt_u32_e32 vcc, s7, v2
	s_waitcnt lgkmcnt(0)
	s_barrier
	s_and_saveexec_b64 s[0:1], vcc
	s_cbranch_execz .LBB60_18
; %bb.3:
	v_lshlrev_b32_e32 v3, 2, v2
	s_waitcnt vmcnt(0)
	ds_read_b32 v1, v3
	v_or_b32_e32 v4, 1, v2
	v_cmp_gt_u32_e32 vcc, s7, v4
	s_and_saveexec_b64 s[4:5], vcc
	s_cbranch_execz .LBB60_5
; %bb.4:
	ds_read_b32 v4, v3 offset:4
	s_waitcnt lgkmcnt(0)
	v_add_u32_e32 v1, v4, v1
.LBB60_5:
	s_or_b64 exec, exec, s[4:5]
	v_or_b32_e32 v4, 2, v2
	v_cmp_gt_u32_e32 vcc, s7, v4
	s_and_saveexec_b64 s[4:5], vcc
	s_cbranch_execz .LBB60_7
; %bb.6:
	ds_read_b32 v4, v3 offset:8
	s_waitcnt lgkmcnt(0)
	v_add_u32_e32 v1, v4, v1
.LBB60_7:
	s_or_b64 exec, exec, s[4:5]
	;; [unrolled: 10-line block ×7, first 2 shown]
	v_mbcnt_lo_u32_b32 v2, -1, 0
	v_mbcnt_hi_u32_b32 v2, -1, v2
	v_and_b32_e32 v3, 63, v2
	v_cmp_ne_u32_e32 vcc, 63, v3
	v_addc_co_u32_e32 v4, vcc, 0, v2, vcc
	v_lshlrev_b32_e32 v4, 2, v4
	s_waitcnt lgkmcnt(0)
	ds_bpermute_b32 v4, v4, v1
	s_add_i32 s7, s7, 7
	s_lshr_b32 s4, s7, 3
	v_add_u32_e32 v5, 1, v2
	v_cmp_gt_u32_e32 vcc, s4, v5
	s_waitcnt lgkmcnt(0)
	v_cndmask_b32_e32 v4, 0, v4, vcc
	v_cmp_gt_u32_e32 vcc, 62, v3
	v_add_u32_e32 v1, v4, v1
	v_cndmask_b32_e64 v4, 0, 1, vcc
	v_lshlrev_b32_e32 v4, 1, v4
	v_add_lshl_u32 v4, v4, v2, 2
	ds_bpermute_b32 v4, v4, v1
	v_add_u32_e32 v5, 2, v2
	v_cmp_gt_u32_e32 vcc, s4, v5
	v_add_u32_e32 v5, 4, v2
	s_waitcnt lgkmcnt(0)
	v_cndmask_b32_e32 v4, 0, v4, vcc
	v_cmp_gt_u32_e32 vcc, 60, v3
	v_add_u32_e32 v1, v1, v4
	v_cndmask_b32_e64 v4, 0, 1, vcc
	v_lshlrev_b32_e32 v4, 2, v4
	v_add_lshl_u32 v4, v4, v2, 2
	ds_bpermute_b32 v4, v4, v1
	v_cmp_gt_u32_e32 vcc, s4, v5
	v_add_u32_e32 v5, 8, v2
	s_waitcnt lgkmcnt(0)
	v_cndmask_b32_e32 v4, 0, v4, vcc
	v_cmp_gt_u32_e32 vcc, 56, v3
	v_add_u32_e32 v1, v1, v4
	v_cndmask_b32_e64 v4, 0, 1, vcc
	v_lshlrev_b32_e32 v4, 3, v4
	v_add_lshl_u32 v4, v4, v2, 2
	ds_bpermute_b32 v4, v4, v1
	v_cmp_gt_u32_e32 vcc, s4, v5
	v_add_u32_e32 v5, 16, v2
	s_waitcnt lgkmcnt(0)
	v_cndmask_b32_e32 v4, 0, v4, vcc
	v_cmp_gt_u32_e32 vcc, 48, v3
	v_add_u32_e32 v1, v1, v4
	v_cndmask_b32_e64 v4, 0, 1, vcc
	v_lshlrev_b32_e32 v4, 4, v4
	v_add_lshl_u32 v4, v4, v2, 2
	ds_bpermute_b32 v4, v4, v1
	v_cmp_gt_u32_e32 vcc, s4, v5
	s_waitcnt lgkmcnt(0)
	v_cndmask_b32_e32 v4, 0, v4, vcc
	v_cmp_gt_u32_e32 vcc, 32, v3
	v_cndmask_b32_e64 v3, 0, 1, vcc
	v_lshlrev_b32_e32 v3, 5, v3
	v_add_u32_e32 v1, v1, v4
	v_add_lshl_u32 v3, v3, v2, 2
	ds_bpermute_b32 v3, v3, v1
	v_add_u32_e32 v2, 32, v2
	v_cmp_gt_u32_e32 vcc, s4, v2
	s_waitcnt lgkmcnt(0)
	v_cndmask_b32_e32 v2, 0, v3, vcc
	v_add_u32_e32 v1, v1, v2
.LBB60_18:
	s_or_b64 exec, exec, s[0:1]
	s_mov_b32 s7, 0
	v_cmp_eq_u32_e32 vcc, 0, v0
	s_and_saveexec_b64 s[0:1], vcc
	s_cbranch_execz .LBB60_20
; %bb.19:
	s_lshl_b64 s[0:1], s[6:7], 2
	s_add_u32 s0, s2, s0
	s_addc_u32 s1, s3, s1
	v_mov_b32_e32 v0, 0
	s_waitcnt vmcnt(0)
	global_store_dword v0, v1, s[0:1]
.LBB60_20:
	s_endpgm
	.section	.rodata,"a",@progbits
	.p2align	6, 0x0
	.amdhsa_kernel _Z19reduce_valid_kernelILj512ELN6hipcub20BlockReduceAlgorithmE1EiEvPT1_S3_j
		.amdhsa_group_segment_fixed_size 2048
		.amdhsa_private_segment_fixed_size 0
		.amdhsa_kernarg_size 20
		.amdhsa_user_sgpr_count 6
		.amdhsa_user_sgpr_private_segment_buffer 1
		.amdhsa_user_sgpr_dispatch_ptr 0
		.amdhsa_user_sgpr_queue_ptr 0
		.amdhsa_user_sgpr_kernarg_segment_ptr 1
		.amdhsa_user_sgpr_dispatch_id 0
		.amdhsa_user_sgpr_flat_scratch_init 0
		.amdhsa_user_sgpr_kernarg_preload_length 0
		.amdhsa_user_sgpr_kernarg_preload_offset 0
		.amdhsa_user_sgpr_private_segment_size 0
		.amdhsa_uses_dynamic_stack 0
		.amdhsa_system_sgpr_private_segment_wavefront_offset 0
		.amdhsa_system_sgpr_workgroup_id_x 1
		.amdhsa_system_sgpr_workgroup_id_y 0
		.amdhsa_system_sgpr_workgroup_id_z 0
		.amdhsa_system_sgpr_workgroup_info 0
		.amdhsa_system_vgpr_workitem_id 0
		.amdhsa_next_free_vgpr 6
		.amdhsa_next_free_sgpr 8
		.amdhsa_accum_offset 8
		.amdhsa_reserve_vcc 1
		.amdhsa_reserve_flat_scratch 0
		.amdhsa_float_round_mode_32 0
		.amdhsa_float_round_mode_16_64 0
		.amdhsa_float_denorm_mode_32 3
		.amdhsa_float_denorm_mode_16_64 3
		.amdhsa_dx10_clamp 1
		.amdhsa_ieee_mode 1
		.amdhsa_fp16_overflow 0
		.amdhsa_tg_split 0
		.amdhsa_exception_fp_ieee_invalid_op 0
		.amdhsa_exception_fp_denorm_src 0
		.amdhsa_exception_fp_ieee_div_zero 0
		.amdhsa_exception_fp_ieee_overflow 0
		.amdhsa_exception_fp_ieee_underflow 0
		.amdhsa_exception_fp_ieee_inexact 0
		.amdhsa_exception_int_div_zero 0
	.end_amdhsa_kernel
	.section	.text._Z19reduce_valid_kernelILj512ELN6hipcub20BlockReduceAlgorithmE1EiEvPT1_S3_j,"axG",@progbits,_Z19reduce_valid_kernelILj512ELN6hipcub20BlockReduceAlgorithmE1EiEvPT1_S3_j,comdat
.Lfunc_end60:
	.size	_Z19reduce_valid_kernelILj512ELN6hipcub20BlockReduceAlgorithmE1EiEvPT1_S3_j, .Lfunc_end60-_Z19reduce_valid_kernelILj512ELN6hipcub20BlockReduceAlgorithmE1EiEvPT1_S3_j
                                        ; -- End function
	.section	.AMDGPU.csdata,"",@progbits
; Kernel info:
; codeLenInByte = 768
; NumSgprs: 12
; NumVgprs: 6
; NumAgprs: 0
; TotalNumVgprs: 6
; ScratchSize: 0
; MemoryBound: 0
; FloatMode: 240
; IeeeMode: 1
; LDSByteSize: 2048 bytes/workgroup (compile time only)
; SGPRBlocks: 1
; VGPRBlocks: 0
; NumSGPRsForWavesPerEU: 12
; NumVGPRsForWavesPerEU: 6
; AccumOffset: 8
; Occupancy: 8
; WaveLimiterHint : 0
; COMPUTE_PGM_RSRC2:SCRATCH_EN: 0
; COMPUTE_PGM_RSRC2:USER_SGPR: 6
; COMPUTE_PGM_RSRC2:TRAP_HANDLER: 0
; COMPUTE_PGM_RSRC2:TGID_X_EN: 1
; COMPUTE_PGM_RSRC2:TGID_Y_EN: 0
; COMPUTE_PGM_RSRC2:TGID_Z_EN: 0
; COMPUTE_PGM_RSRC2:TIDIG_COMP_CNT: 0
; COMPUTE_PGM_RSRC3_GFX90A:ACCUM_OFFSET: 1
; COMPUTE_PGM_RSRC3_GFX90A:TG_SPLIT: 0
	.section	.text._Z19reduce_valid_kernelILj256ELN6hipcub20BlockReduceAlgorithmE1EiEvPT1_S3_j,"axG",@progbits,_Z19reduce_valid_kernelILj256ELN6hipcub20BlockReduceAlgorithmE1EiEvPT1_S3_j,comdat
	.protected	_Z19reduce_valid_kernelILj256ELN6hipcub20BlockReduceAlgorithmE1EiEvPT1_S3_j ; -- Begin function _Z19reduce_valid_kernelILj256ELN6hipcub20BlockReduceAlgorithmE1EiEvPT1_S3_j
	.globl	_Z19reduce_valid_kernelILj256ELN6hipcub20BlockReduceAlgorithmE1EiEvPT1_S3_j
	.p2align	8
	.type	_Z19reduce_valid_kernelILj256ELN6hipcub20BlockReduceAlgorithmE1EiEvPT1_S3_j,@function
_Z19reduce_valid_kernelILj256ELN6hipcub20BlockReduceAlgorithmE1EiEvPT1_S3_j: ; @_Z19reduce_valid_kernelILj256ELN6hipcub20BlockReduceAlgorithmE1EiEvPT1_S3_j
; %bb.0:
	s_load_dwordx4 s[0:3], s[4:5], 0x0
	s_load_dword s7, s[4:5], 0x10
	v_lshl_or_b32 v2, s6, 8, v0
	v_mov_b32_e32 v3, 0
	v_lshlrev_b64 v[2:3], 2, v[2:3]
	s_waitcnt lgkmcnt(0)
	v_mov_b32_e32 v1, s1
	v_add_co_u32_e32 v2, vcc, s0, v2
	v_addc_co_u32_e32 v3, vcc, v1, v3, vcc
	global_load_dword v1, v[2:3], off
	v_cmp_gt_u32_e32 vcc, s7, v0
	v_lshlrev_b32_e32 v2, 2, v0
	s_and_saveexec_b64 s[0:1], vcc
	s_cbranch_execz .LBB61_2
; %bb.1:
	s_waitcnt vmcnt(0)
	ds_write_b32 v2, v1
.LBB61_2:
	s_or_b64 exec, exec, s[0:1]
	v_cmp_gt_u32_e32 vcc, s7, v2
	s_waitcnt lgkmcnt(0)
	s_barrier
	s_and_saveexec_b64 s[0:1], vcc
	s_cbranch_execz .LBB61_10
; %bb.3:
	v_lshlrev_b32_e32 v3, 2, v2
	s_waitcnt vmcnt(0)
	ds_read_b32 v1, v3
	v_or_b32_e32 v4, 1, v2
	v_cmp_gt_u32_e32 vcc, s7, v4
	s_and_saveexec_b64 s[4:5], vcc
	s_cbranch_execz .LBB61_5
; %bb.4:
	ds_read_b32 v4, v3 offset:4
	s_waitcnt lgkmcnt(0)
	v_add_u32_e32 v1, v4, v1
.LBB61_5:
	s_or_b64 exec, exec, s[4:5]
	v_or_b32_e32 v4, 2, v2
	v_cmp_gt_u32_e32 vcc, s7, v4
	s_and_saveexec_b64 s[4:5], vcc
	s_cbranch_execz .LBB61_7
; %bb.6:
	ds_read_b32 v4, v3 offset:8
	s_waitcnt lgkmcnt(0)
	v_add_u32_e32 v1, v4, v1
.LBB61_7:
	s_or_b64 exec, exec, s[4:5]
	;; [unrolled: 10-line block ×3, first 2 shown]
	v_mbcnt_lo_u32_b32 v2, -1, 0
	v_mbcnt_hi_u32_b32 v2, -1, v2
	v_and_b32_e32 v3, 63, v2
	v_cmp_ne_u32_e32 vcc, 63, v3
	v_addc_co_u32_e32 v4, vcc, 0, v2, vcc
	v_lshlrev_b32_e32 v4, 2, v4
	s_waitcnt lgkmcnt(0)
	ds_bpermute_b32 v4, v4, v1
	s_add_i32 s7, s7, 3
	s_lshr_b32 s4, s7, 2
	v_add_u32_e32 v5, 1, v2
	v_cmp_gt_u32_e32 vcc, s4, v5
	s_waitcnt lgkmcnt(0)
	v_cndmask_b32_e32 v4, 0, v4, vcc
	v_cmp_gt_u32_e32 vcc, 62, v3
	v_add_u32_e32 v1, v4, v1
	v_cndmask_b32_e64 v4, 0, 1, vcc
	v_lshlrev_b32_e32 v4, 1, v4
	v_add_lshl_u32 v4, v4, v2, 2
	ds_bpermute_b32 v4, v4, v1
	v_add_u32_e32 v5, 2, v2
	v_cmp_gt_u32_e32 vcc, s4, v5
	v_add_u32_e32 v5, 4, v2
	s_waitcnt lgkmcnt(0)
	v_cndmask_b32_e32 v4, 0, v4, vcc
	v_cmp_gt_u32_e32 vcc, 60, v3
	v_add_u32_e32 v1, v1, v4
	v_cndmask_b32_e64 v4, 0, 1, vcc
	v_lshlrev_b32_e32 v4, 2, v4
	v_add_lshl_u32 v4, v4, v2, 2
	ds_bpermute_b32 v4, v4, v1
	v_cmp_gt_u32_e32 vcc, s4, v5
	v_add_u32_e32 v5, 8, v2
	s_waitcnt lgkmcnt(0)
	v_cndmask_b32_e32 v4, 0, v4, vcc
	v_cmp_gt_u32_e32 vcc, 56, v3
	v_add_u32_e32 v1, v1, v4
	v_cndmask_b32_e64 v4, 0, 1, vcc
	v_lshlrev_b32_e32 v4, 3, v4
	v_add_lshl_u32 v4, v4, v2, 2
	ds_bpermute_b32 v4, v4, v1
	;; [unrolled: 10-line block ×3, first 2 shown]
	v_cmp_gt_u32_e32 vcc, s4, v5
	s_waitcnt lgkmcnt(0)
	v_cndmask_b32_e32 v4, 0, v4, vcc
	v_cmp_gt_u32_e32 vcc, 32, v3
	v_cndmask_b32_e64 v3, 0, 1, vcc
	v_lshlrev_b32_e32 v3, 5, v3
	v_add_u32_e32 v1, v1, v4
	v_add_lshl_u32 v3, v3, v2, 2
	ds_bpermute_b32 v3, v3, v1
	v_add_u32_e32 v2, 32, v2
	v_cmp_gt_u32_e32 vcc, s4, v2
	s_waitcnt lgkmcnt(0)
	v_cndmask_b32_e32 v2, 0, v3, vcc
	v_add_u32_e32 v1, v1, v2
.LBB61_10:
	s_or_b64 exec, exec, s[0:1]
	s_mov_b32 s7, 0
	v_cmp_eq_u32_e32 vcc, 0, v0
	s_and_saveexec_b64 s[0:1], vcc
	s_cbranch_execz .LBB61_12
; %bb.11:
	s_lshl_b64 s[0:1], s[6:7], 2
	s_add_u32 s0, s2, s0
	s_addc_u32 s1, s3, s1
	v_mov_b32_e32 v0, 0
	s_waitcnt vmcnt(0)
	global_store_dword v0, v1, s[0:1]
.LBB61_12:
	s_endpgm
	.section	.rodata,"a",@progbits
	.p2align	6, 0x0
	.amdhsa_kernel _Z19reduce_valid_kernelILj256ELN6hipcub20BlockReduceAlgorithmE1EiEvPT1_S3_j
		.amdhsa_group_segment_fixed_size 1024
		.amdhsa_private_segment_fixed_size 0
		.amdhsa_kernarg_size 20
		.amdhsa_user_sgpr_count 6
		.amdhsa_user_sgpr_private_segment_buffer 1
		.amdhsa_user_sgpr_dispatch_ptr 0
		.amdhsa_user_sgpr_queue_ptr 0
		.amdhsa_user_sgpr_kernarg_segment_ptr 1
		.amdhsa_user_sgpr_dispatch_id 0
		.amdhsa_user_sgpr_flat_scratch_init 0
		.amdhsa_user_sgpr_kernarg_preload_length 0
		.amdhsa_user_sgpr_kernarg_preload_offset 0
		.amdhsa_user_sgpr_private_segment_size 0
		.amdhsa_uses_dynamic_stack 0
		.amdhsa_system_sgpr_private_segment_wavefront_offset 0
		.amdhsa_system_sgpr_workgroup_id_x 1
		.amdhsa_system_sgpr_workgroup_id_y 0
		.amdhsa_system_sgpr_workgroup_id_z 0
		.amdhsa_system_sgpr_workgroup_info 0
		.amdhsa_system_vgpr_workitem_id 0
		.amdhsa_next_free_vgpr 6
		.amdhsa_next_free_sgpr 8
		.amdhsa_accum_offset 8
		.amdhsa_reserve_vcc 1
		.amdhsa_reserve_flat_scratch 0
		.amdhsa_float_round_mode_32 0
		.amdhsa_float_round_mode_16_64 0
		.amdhsa_float_denorm_mode_32 3
		.amdhsa_float_denorm_mode_16_64 3
		.amdhsa_dx10_clamp 1
		.amdhsa_ieee_mode 1
		.amdhsa_fp16_overflow 0
		.amdhsa_tg_split 0
		.amdhsa_exception_fp_ieee_invalid_op 0
		.amdhsa_exception_fp_denorm_src 0
		.amdhsa_exception_fp_ieee_div_zero 0
		.amdhsa_exception_fp_ieee_overflow 0
		.amdhsa_exception_fp_ieee_underflow 0
		.amdhsa_exception_fp_ieee_inexact 0
		.amdhsa_exception_int_div_zero 0
	.end_amdhsa_kernel
	.section	.text._Z19reduce_valid_kernelILj256ELN6hipcub20BlockReduceAlgorithmE1EiEvPT1_S3_j,"axG",@progbits,_Z19reduce_valid_kernelILj256ELN6hipcub20BlockReduceAlgorithmE1EiEvPT1_S3_j,comdat
.Lfunc_end61:
	.size	_Z19reduce_valid_kernelILj256ELN6hipcub20BlockReduceAlgorithmE1EiEvPT1_S3_j, .Lfunc_end61-_Z19reduce_valid_kernelILj256ELN6hipcub20BlockReduceAlgorithmE1EiEvPT1_S3_j
                                        ; -- End function
	.section	.AMDGPU.csdata,"",@progbits
; Kernel info:
; codeLenInByte = 620
; NumSgprs: 12
; NumVgprs: 6
; NumAgprs: 0
; TotalNumVgprs: 6
; ScratchSize: 0
; MemoryBound: 0
; FloatMode: 240
; IeeeMode: 1
; LDSByteSize: 1024 bytes/workgroup (compile time only)
; SGPRBlocks: 1
; VGPRBlocks: 0
; NumSGPRsForWavesPerEU: 12
; NumVGPRsForWavesPerEU: 6
; AccumOffset: 8
; Occupancy: 8
; WaveLimiterHint : 0
; COMPUTE_PGM_RSRC2:SCRATCH_EN: 0
; COMPUTE_PGM_RSRC2:USER_SGPR: 6
; COMPUTE_PGM_RSRC2:TRAP_HANDLER: 0
; COMPUTE_PGM_RSRC2:TGID_X_EN: 1
; COMPUTE_PGM_RSRC2:TGID_Y_EN: 0
; COMPUTE_PGM_RSRC2:TGID_Z_EN: 0
; COMPUTE_PGM_RSRC2:TIDIG_COMP_CNT: 0
; COMPUTE_PGM_RSRC3_GFX90A:ACCUM_OFFSET: 1
; COMPUTE_PGM_RSRC3_GFX90A:TG_SPLIT: 0
	.section	.text._Z19reduce_valid_kernelILj192ELN6hipcub20BlockReduceAlgorithmE1EiEvPT1_S3_j,"axG",@progbits,_Z19reduce_valid_kernelILj192ELN6hipcub20BlockReduceAlgorithmE1EiEvPT1_S3_j,comdat
	.protected	_Z19reduce_valid_kernelILj192ELN6hipcub20BlockReduceAlgorithmE1EiEvPT1_S3_j ; -- Begin function _Z19reduce_valid_kernelILj192ELN6hipcub20BlockReduceAlgorithmE1EiEvPT1_S3_j
	.globl	_Z19reduce_valid_kernelILj192ELN6hipcub20BlockReduceAlgorithmE1EiEvPT1_S3_j
	.p2align	8
	.type	_Z19reduce_valid_kernelILj192ELN6hipcub20BlockReduceAlgorithmE1EiEvPT1_S3_j,@function
_Z19reduce_valid_kernelILj192ELN6hipcub20BlockReduceAlgorithmE1EiEvPT1_S3_j: ; @_Z19reduce_valid_kernelILj192ELN6hipcub20BlockReduceAlgorithmE1EiEvPT1_S3_j
; %bb.0:
	s_load_dwordx4 s[0:3], s[4:5], 0x0
	s_load_dword s7, s[4:5], 0x10
	s_mul_i32 s4, s6, 0xc0
	v_add_u32_e32 v2, s4, v0
	v_mov_b32_e32 v3, 0
	v_lshlrev_b64 v[2:3], 2, v[2:3]
	s_waitcnt lgkmcnt(0)
	v_mov_b32_e32 v1, s1
	v_add_co_u32_e32 v2, vcc, s0, v2
	v_addc_co_u32_e32 v3, vcc, v1, v3, vcc
	global_load_dword v1, v[2:3], off
	v_cmp_gt_u32_e32 vcc, s7, v0
	s_and_saveexec_b64 s[0:1], vcc
	s_cbranch_execz .LBB62_2
; %bb.1:
	v_lshlrev_b32_e32 v2, 2, v0
	s_waitcnt vmcnt(0)
	ds_write_b32 v2, v1
.LBB62_2:
	s_or_b64 exec, exec, s[0:1]
	v_mul_u32_u24_e32 v2, 3, v0
	v_cmp_gt_u32_e32 vcc, s7, v2
	s_waitcnt lgkmcnt(0)
	s_barrier
	s_and_saveexec_b64 s[0:1], vcc
	s_cbranch_execz .LBB62_8
; %bb.3:
	v_lshlrev_b32_e32 v3, 2, v2
	s_waitcnt vmcnt(0)
	ds_read_b32 v1, v3
	v_add_u32_e32 v4, 1, v2
	v_cmp_gt_u32_e32 vcc, s7, v4
	s_and_saveexec_b64 s[4:5], vcc
	s_cbranch_execz .LBB62_5
; %bb.4:
	ds_read_b32 v4, v3 offset:4
	s_waitcnt lgkmcnt(0)
	v_add_u32_e32 v1, v4, v1
.LBB62_5:
	s_or_b64 exec, exec, s[4:5]
	v_add_u32_e32 v2, 2, v2
	v_cmp_gt_u32_e32 vcc, s7, v2
	s_and_saveexec_b64 s[4:5], vcc
	s_cbranch_execz .LBB62_7
; %bb.6:
	ds_read_b32 v2, v3 offset:8
	s_waitcnt lgkmcnt(0)
	v_add_u32_e32 v1, v2, v1
.LBB62_7:
	s_or_b64 exec, exec, s[4:5]
	v_mbcnt_lo_u32_b32 v2, -1, 0
	v_mbcnt_hi_u32_b32 v2, -1, v2
	v_and_b32_e32 v3, 63, v2
	v_cmp_ne_u32_e32 vcc, 63, v3
	v_addc_co_u32_e32 v4, vcc, 0, v2, vcc
	v_lshlrev_b32_e32 v4, 2, v4
	s_waitcnt lgkmcnt(0)
	ds_bpermute_b32 v4, v4, v1
	s_add_i32 s7, s7, 2
	s_mul_hi_u32 s4, s7, 0xaaaaaaab
	s_lshr_b32 s4, s4, 1
	v_add_u32_e32 v5, 1, v2
	v_cmp_gt_u32_e32 vcc, s4, v5
	s_waitcnt lgkmcnt(0)
	v_cndmask_b32_e32 v4, 0, v4, vcc
	v_cmp_gt_u32_e32 vcc, 62, v3
	v_add_u32_e32 v1, v4, v1
	v_cndmask_b32_e64 v4, 0, 1, vcc
	v_lshlrev_b32_e32 v4, 1, v4
	v_add_lshl_u32 v4, v4, v2, 2
	ds_bpermute_b32 v4, v4, v1
	v_add_u32_e32 v5, 2, v2
	v_cmp_gt_u32_e32 vcc, s4, v5
	v_add_u32_e32 v5, 4, v2
	s_waitcnt lgkmcnt(0)
	v_cndmask_b32_e32 v4, 0, v4, vcc
	v_cmp_gt_u32_e32 vcc, 60, v3
	v_add_u32_e32 v1, v1, v4
	v_cndmask_b32_e64 v4, 0, 1, vcc
	v_lshlrev_b32_e32 v4, 2, v4
	v_add_lshl_u32 v4, v4, v2, 2
	ds_bpermute_b32 v4, v4, v1
	v_cmp_gt_u32_e32 vcc, s4, v5
	v_add_u32_e32 v5, 8, v2
	s_waitcnt lgkmcnt(0)
	v_cndmask_b32_e32 v4, 0, v4, vcc
	v_cmp_gt_u32_e32 vcc, 56, v3
	v_add_u32_e32 v1, v1, v4
	v_cndmask_b32_e64 v4, 0, 1, vcc
	v_lshlrev_b32_e32 v4, 3, v4
	v_add_lshl_u32 v4, v4, v2, 2
	ds_bpermute_b32 v4, v4, v1
	;; [unrolled: 10-line block ×3, first 2 shown]
	v_cmp_gt_u32_e32 vcc, s4, v5
	s_waitcnt lgkmcnt(0)
	v_cndmask_b32_e32 v4, 0, v4, vcc
	v_cmp_gt_u32_e32 vcc, 32, v3
	v_cndmask_b32_e64 v3, 0, 1, vcc
	v_lshlrev_b32_e32 v3, 5, v3
	v_add_u32_e32 v1, v1, v4
	v_add_lshl_u32 v3, v3, v2, 2
	ds_bpermute_b32 v3, v3, v1
	v_add_u32_e32 v2, 32, v2
	v_cmp_gt_u32_e32 vcc, s4, v2
	s_waitcnt lgkmcnt(0)
	v_cndmask_b32_e32 v2, 0, v3, vcc
	v_add_u32_e32 v1, v1, v2
.LBB62_8:
	s_or_b64 exec, exec, s[0:1]
	s_mov_b32 s7, 0
	v_cmp_eq_u32_e32 vcc, 0, v0
	s_and_saveexec_b64 s[0:1], vcc
	s_cbranch_execz .LBB62_10
; %bb.9:
	s_lshl_b64 s[0:1], s[6:7], 2
	s_add_u32 s0, s2, s0
	s_addc_u32 s1, s3, s1
	v_mov_b32_e32 v0, 0
	s_waitcnt vmcnt(0)
	global_store_dword v0, v1, s[0:1]
.LBB62_10:
	s_endpgm
	.section	.rodata,"a",@progbits
	.p2align	6, 0x0
	.amdhsa_kernel _Z19reduce_valid_kernelILj192ELN6hipcub20BlockReduceAlgorithmE1EiEvPT1_S3_j
		.amdhsa_group_segment_fixed_size 768
		.amdhsa_private_segment_fixed_size 0
		.amdhsa_kernarg_size 20
		.amdhsa_user_sgpr_count 6
		.amdhsa_user_sgpr_private_segment_buffer 1
		.amdhsa_user_sgpr_dispatch_ptr 0
		.amdhsa_user_sgpr_queue_ptr 0
		.amdhsa_user_sgpr_kernarg_segment_ptr 1
		.amdhsa_user_sgpr_dispatch_id 0
		.amdhsa_user_sgpr_flat_scratch_init 0
		.amdhsa_user_sgpr_kernarg_preload_length 0
		.amdhsa_user_sgpr_kernarg_preload_offset 0
		.amdhsa_user_sgpr_private_segment_size 0
		.amdhsa_uses_dynamic_stack 0
		.amdhsa_system_sgpr_private_segment_wavefront_offset 0
		.amdhsa_system_sgpr_workgroup_id_x 1
		.amdhsa_system_sgpr_workgroup_id_y 0
		.amdhsa_system_sgpr_workgroup_id_z 0
		.amdhsa_system_sgpr_workgroup_info 0
		.amdhsa_system_vgpr_workitem_id 0
		.amdhsa_next_free_vgpr 6
		.amdhsa_next_free_sgpr 8
		.amdhsa_accum_offset 8
		.amdhsa_reserve_vcc 1
		.amdhsa_reserve_flat_scratch 0
		.amdhsa_float_round_mode_32 0
		.amdhsa_float_round_mode_16_64 0
		.amdhsa_float_denorm_mode_32 3
		.amdhsa_float_denorm_mode_16_64 3
		.amdhsa_dx10_clamp 1
		.amdhsa_ieee_mode 1
		.amdhsa_fp16_overflow 0
		.amdhsa_tg_split 0
		.amdhsa_exception_fp_ieee_invalid_op 0
		.amdhsa_exception_fp_denorm_src 0
		.amdhsa_exception_fp_ieee_div_zero 0
		.amdhsa_exception_fp_ieee_overflow 0
		.amdhsa_exception_fp_ieee_underflow 0
		.amdhsa_exception_fp_ieee_inexact 0
		.amdhsa_exception_int_div_zero 0
	.end_amdhsa_kernel
	.section	.text._Z19reduce_valid_kernelILj192ELN6hipcub20BlockReduceAlgorithmE1EiEvPT1_S3_j,"axG",@progbits,_Z19reduce_valid_kernelILj192ELN6hipcub20BlockReduceAlgorithmE1EiEvPT1_S3_j,comdat
.Lfunc_end62:
	.size	_Z19reduce_valid_kernelILj192ELN6hipcub20BlockReduceAlgorithmE1EiEvPT1_S3_j, .Lfunc_end62-_Z19reduce_valid_kernelILj192ELN6hipcub20BlockReduceAlgorithmE1EiEvPT1_S3_j
                                        ; -- End function
	.section	.AMDGPU.csdata,"",@progbits
; Kernel info:
; codeLenInByte = 600
; NumSgprs: 12
; NumVgprs: 6
; NumAgprs: 0
; TotalNumVgprs: 6
; ScratchSize: 0
; MemoryBound: 0
; FloatMode: 240
; IeeeMode: 1
; LDSByteSize: 768 bytes/workgroup (compile time only)
; SGPRBlocks: 1
; VGPRBlocks: 0
; NumSGPRsForWavesPerEU: 12
; NumVGPRsForWavesPerEU: 6
; AccumOffset: 8
; Occupancy: 8
; WaveLimiterHint : 0
; COMPUTE_PGM_RSRC2:SCRATCH_EN: 0
; COMPUTE_PGM_RSRC2:USER_SGPR: 6
; COMPUTE_PGM_RSRC2:TRAP_HANDLER: 0
; COMPUTE_PGM_RSRC2:TGID_X_EN: 1
; COMPUTE_PGM_RSRC2:TGID_Y_EN: 0
; COMPUTE_PGM_RSRC2:TGID_Z_EN: 0
; COMPUTE_PGM_RSRC2:TIDIG_COMP_CNT: 0
; COMPUTE_PGM_RSRC3_GFX90A:ACCUM_OFFSET: 1
; COMPUTE_PGM_RSRC3_GFX90A:TG_SPLIT: 0
	.section	.text._Z19reduce_valid_kernelILj128ELN6hipcub20BlockReduceAlgorithmE1EiEvPT1_S3_j,"axG",@progbits,_Z19reduce_valid_kernelILj128ELN6hipcub20BlockReduceAlgorithmE1EiEvPT1_S3_j,comdat
	.protected	_Z19reduce_valid_kernelILj128ELN6hipcub20BlockReduceAlgorithmE1EiEvPT1_S3_j ; -- Begin function _Z19reduce_valid_kernelILj128ELN6hipcub20BlockReduceAlgorithmE1EiEvPT1_S3_j
	.globl	_Z19reduce_valid_kernelILj128ELN6hipcub20BlockReduceAlgorithmE1EiEvPT1_S3_j
	.p2align	8
	.type	_Z19reduce_valid_kernelILj128ELN6hipcub20BlockReduceAlgorithmE1EiEvPT1_S3_j,@function
_Z19reduce_valid_kernelILj128ELN6hipcub20BlockReduceAlgorithmE1EiEvPT1_S3_j: ; @_Z19reduce_valid_kernelILj128ELN6hipcub20BlockReduceAlgorithmE1EiEvPT1_S3_j
; %bb.0:
	s_load_dwordx4 s[0:3], s[4:5], 0x0
	s_load_dword s7, s[4:5], 0x10
	v_lshl_or_b32 v2, s6, 7, v0
	v_mov_b32_e32 v3, 0
	v_lshlrev_b64 v[2:3], 2, v[2:3]
	s_waitcnt lgkmcnt(0)
	v_mov_b32_e32 v1, s1
	v_add_co_u32_e32 v2, vcc, s0, v2
	v_addc_co_u32_e32 v3, vcc, v1, v3, vcc
	global_load_dword v1, v[2:3], off
	v_cmp_gt_u32_e32 vcc, s7, v0
	s_and_saveexec_b64 s[0:1], vcc
	s_cbranch_execz .LBB63_2
; %bb.1:
	v_lshlrev_b32_e32 v2, 2, v0
	s_waitcnt vmcnt(0)
	ds_write_b32 v2, v1
.LBB63_2:
	s_or_b64 exec, exec, s[0:1]
	v_lshlrev_b32_e32 v2, 1, v0
	v_cmp_gt_u32_e32 vcc, s7, v2
	s_waitcnt lgkmcnt(0)
	s_barrier
	s_and_saveexec_b64 s[0:1], vcc
	s_cbranch_execz .LBB63_6
; %bb.3:
	v_lshlrev_b32_e32 v3, 2, v2
	s_waitcnt vmcnt(0)
	ds_read_b32 v1, v3
	v_or_b32_e32 v2, 1, v2
	v_cmp_gt_u32_e32 vcc, s7, v2
	s_and_saveexec_b64 s[4:5], vcc
	s_cbranch_execz .LBB63_5
; %bb.4:
	ds_read_b32 v2, v3 offset:4
	s_waitcnt lgkmcnt(0)
	v_add_u32_e32 v1, v2, v1
.LBB63_5:
	s_or_b64 exec, exec, s[4:5]
	v_mbcnt_lo_u32_b32 v2, -1, 0
	v_mbcnt_hi_u32_b32 v2, -1, v2
	v_and_b32_e32 v3, 63, v2
	v_cmp_ne_u32_e32 vcc, 63, v3
	v_addc_co_u32_e32 v4, vcc, 0, v2, vcc
	v_lshlrev_b32_e32 v4, 2, v4
	s_waitcnt lgkmcnt(0)
	ds_bpermute_b32 v4, v4, v1
	s_add_i32 s7, s7, 1
	s_lshr_b32 s4, s7, 1
	v_add_u32_e32 v5, 1, v2
	v_cmp_gt_u32_e32 vcc, s4, v5
	s_waitcnt lgkmcnt(0)
	v_cndmask_b32_e32 v4, 0, v4, vcc
	v_cmp_gt_u32_e32 vcc, 62, v3
	v_add_u32_e32 v1, v4, v1
	v_cndmask_b32_e64 v4, 0, 1, vcc
	v_lshlrev_b32_e32 v4, 1, v4
	v_add_lshl_u32 v4, v4, v2, 2
	ds_bpermute_b32 v4, v4, v1
	v_add_u32_e32 v5, 2, v2
	v_cmp_gt_u32_e32 vcc, s4, v5
	v_add_u32_e32 v5, 4, v2
	s_waitcnt lgkmcnt(0)
	v_cndmask_b32_e32 v4, 0, v4, vcc
	v_cmp_gt_u32_e32 vcc, 60, v3
	v_add_u32_e32 v1, v1, v4
	v_cndmask_b32_e64 v4, 0, 1, vcc
	v_lshlrev_b32_e32 v4, 2, v4
	v_add_lshl_u32 v4, v4, v2, 2
	ds_bpermute_b32 v4, v4, v1
	v_cmp_gt_u32_e32 vcc, s4, v5
	v_add_u32_e32 v5, 8, v2
	s_waitcnt lgkmcnt(0)
	v_cndmask_b32_e32 v4, 0, v4, vcc
	v_cmp_gt_u32_e32 vcc, 56, v3
	v_add_u32_e32 v1, v1, v4
	v_cndmask_b32_e64 v4, 0, 1, vcc
	v_lshlrev_b32_e32 v4, 3, v4
	v_add_lshl_u32 v4, v4, v2, 2
	ds_bpermute_b32 v4, v4, v1
	;; [unrolled: 10-line block ×3, first 2 shown]
	v_cmp_gt_u32_e32 vcc, s4, v5
	s_waitcnt lgkmcnt(0)
	v_cndmask_b32_e32 v4, 0, v4, vcc
	v_cmp_gt_u32_e32 vcc, 32, v3
	v_cndmask_b32_e64 v3, 0, 1, vcc
	v_lshlrev_b32_e32 v3, 5, v3
	v_add_u32_e32 v1, v1, v4
	v_add_lshl_u32 v3, v3, v2, 2
	ds_bpermute_b32 v3, v3, v1
	v_add_u32_e32 v2, 32, v2
	v_cmp_gt_u32_e32 vcc, s4, v2
	s_waitcnt lgkmcnt(0)
	v_cndmask_b32_e32 v2, 0, v3, vcc
	v_add_u32_e32 v1, v1, v2
.LBB63_6:
	s_or_b64 exec, exec, s[0:1]
	s_mov_b32 s7, 0
	v_cmp_eq_u32_e32 vcc, 0, v0
	s_and_saveexec_b64 s[0:1], vcc
	s_cbranch_execz .LBB63_8
; %bb.7:
	s_lshl_b64 s[0:1], s[6:7], 2
	s_add_u32 s0, s2, s0
	s_addc_u32 s1, s3, s1
	v_mov_b32_e32 v0, 0
	s_waitcnt vmcnt(0)
	global_store_dword v0, v1, s[0:1]
.LBB63_8:
	s_endpgm
	.section	.rodata,"a",@progbits
	.p2align	6, 0x0
	.amdhsa_kernel _Z19reduce_valid_kernelILj128ELN6hipcub20BlockReduceAlgorithmE1EiEvPT1_S3_j
		.amdhsa_group_segment_fixed_size 512
		.amdhsa_private_segment_fixed_size 0
		.amdhsa_kernarg_size 20
		.amdhsa_user_sgpr_count 6
		.amdhsa_user_sgpr_private_segment_buffer 1
		.amdhsa_user_sgpr_dispatch_ptr 0
		.amdhsa_user_sgpr_queue_ptr 0
		.amdhsa_user_sgpr_kernarg_segment_ptr 1
		.amdhsa_user_sgpr_dispatch_id 0
		.amdhsa_user_sgpr_flat_scratch_init 0
		.amdhsa_user_sgpr_kernarg_preload_length 0
		.amdhsa_user_sgpr_kernarg_preload_offset 0
		.amdhsa_user_sgpr_private_segment_size 0
		.amdhsa_uses_dynamic_stack 0
		.amdhsa_system_sgpr_private_segment_wavefront_offset 0
		.amdhsa_system_sgpr_workgroup_id_x 1
		.amdhsa_system_sgpr_workgroup_id_y 0
		.amdhsa_system_sgpr_workgroup_id_z 0
		.amdhsa_system_sgpr_workgroup_info 0
		.amdhsa_system_vgpr_workitem_id 0
		.amdhsa_next_free_vgpr 6
		.amdhsa_next_free_sgpr 8
		.amdhsa_accum_offset 8
		.amdhsa_reserve_vcc 1
		.amdhsa_reserve_flat_scratch 0
		.amdhsa_float_round_mode_32 0
		.amdhsa_float_round_mode_16_64 0
		.amdhsa_float_denorm_mode_32 3
		.amdhsa_float_denorm_mode_16_64 3
		.amdhsa_dx10_clamp 1
		.amdhsa_ieee_mode 1
		.amdhsa_fp16_overflow 0
		.amdhsa_tg_split 0
		.amdhsa_exception_fp_ieee_invalid_op 0
		.amdhsa_exception_fp_denorm_src 0
		.amdhsa_exception_fp_ieee_div_zero 0
		.amdhsa_exception_fp_ieee_overflow 0
		.amdhsa_exception_fp_ieee_underflow 0
		.amdhsa_exception_fp_ieee_inexact 0
		.amdhsa_exception_int_div_zero 0
	.end_amdhsa_kernel
	.section	.text._Z19reduce_valid_kernelILj128ELN6hipcub20BlockReduceAlgorithmE1EiEvPT1_S3_j,"axG",@progbits,_Z19reduce_valid_kernelILj128ELN6hipcub20BlockReduceAlgorithmE1EiEvPT1_S3_j,comdat
.Lfunc_end63:
	.size	_Z19reduce_valid_kernelILj128ELN6hipcub20BlockReduceAlgorithmE1EiEvPT1_S3_j, .Lfunc_end63-_Z19reduce_valid_kernelILj128ELN6hipcub20BlockReduceAlgorithmE1EiEvPT1_S3_j
                                        ; -- End function
	.section	.AMDGPU.csdata,"",@progbits
; Kernel info:
; codeLenInByte = 552
; NumSgprs: 12
; NumVgprs: 6
; NumAgprs: 0
; TotalNumVgprs: 6
; ScratchSize: 0
; MemoryBound: 0
; FloatMode: 240
; IeeeMode: 1
; LDSByteSize: 512 bytes/workgroup (compile time only)
; SGPRBlocks: 1
; VGPRBlocks: 0
; NumSGPRsForWavesPerEU: 12
; NumVGPRsForWavesPerEU: 6
; AccumOffset: 8
; Occupancy: 8
; WaveLimiterHint : 0
; COMPUTE_PGM_RSRC2:SCRATCH_EN: 0
; COMPUTE_PGM_RSRC2:USER_SGPR: 6
; COMPUTE_PGM_RSRC2:TRAP_HANDLER: 0
; COMPUTE_PGM_RSRC2:TGID_X_EN: 1
; COMPUTE_PGM_RSRC2:TGID_Y_EN: 0
; COMPUTE_PGM_RSRC2:TGID_Z_EN: 0
; COMPUTE_PGM_RSRC2:TIDIG_COMP_CNT: 0
; COMPUTE_PGM_RSRC3_GFX90A:ACCUM_OFFSET: 1
; COMPUTE_PGM_RSRC3_GFX90A:TG_SPLIT: 0
	.section	.text._Z19reduce_valid_kernelILj64ELN6hipcub20BlockReduceAlgorithmE1EiEvPT1_S3_j,"axG",@progbits,_Z19reduce_valid_kernelILj64ELN6hipcub20BlockReduceAlgorithmE1EiEvPT1_S3_j,comdat
	.protected	_Z19reduce_valid_kernelILj64ELN6hipcub20BlockReduceAlgorithmE1EiEvPT1_S3_j ; -- Begin function _Z19reduce_valid_kernelILj64ELN6hipcub20BlockReduceAlgorithmE1EiEvPT1_S3_j
	.globl	_Z19reduce_valid_kernelILj64ELN6hipcub20BlockReduceAlgorithmE1EiEvPT1_S3_j
	.p2align	8
	.type	_Z19reduce_valid_kernelILj64ELN6hipcub20BlockReduceAlgorithmE1EiEvPT1_S3_j,@function
_Z19reduce_valid_kernelILj64ELN6hipcub20BlockReduceAlgorithmE1EiEvPT1_S3_j: ; @_Z19reduce_valid_kernelILj64ELN6hipcub20BlockReduceAlgorithmE1EiEvPT1_S3_j
; %bb.0:
	s_load_dwordx4 s[0:3], s[4:5], 0x0
	s_load_dword s7, s[4:5], 0x10
	v_lshl_or_b32 v2, s6, 6, v0
	v_mov_b32_e32 v3, 0
	v_lshlrev_b64 v[2:3], 2, v[2:3]
	s_waitcnt lgkmcnt(0)
	v_mov_b32_e32 v1, s1
	v_add_co_u32_e32 v2, vcc, s0, v2
	v_addc_co_u32_e32 v3, vcc, v1, v3, vcc
	global_load_dword v1, v[2:3], off
	v_cmp_gt_u32_e32 vcc, s7, v0
	v_lshlrev_b32_e32 v2, 2, v0
	s_and_saveexec_b64 s[0:1], vcc
	s_cbranch_execz .LBB64_2
; %bb.1:
	s_waitcnt vmcnt(0)
	ds_write_b32 v2, v1
.LBB64_2:
	s_or_b64 exec, exec, s[0:1]
	s_waitcnt lgkmcnt(0)
	; wave barrier
	s_waitcnt lgkmcnt(0)
	s_and_saveexec_b64 s[0:1], vcc
	s_cbranch_execz .LBB64_4
; %bb.3:
	s_waitcnt vmcnt(0)
	ds_read_b32 v1, v2
	v_mbcnt_lo_u32_b32 v2, -1, 0
	v_mbcnt_hi_u32_b32 v2, -1, v2
	v_and_b32_e32 v3, 63, v2
	v_cmp_ne_u32_e32 vcc, 63, v3
	v_addc_co_u32_e32 v4, vcc, 0, v2, vcc
	v_lshlrev_b32_e32 v4, 2, v4
	s_waitcnt lgkmcnt(0)
	ds_bpermute_b32 v4, v4, v1
	v_add_u32_e32 v5, 1, v2
	v_cmp_gt_u32_e32 vcc, s7, v5
	v_add_u32_e32 v5, 2, v2
	s_waitcnt lgkmcnt(0)
	v_cndmask_b32_e32 v4, 0, v4, vcc
	v_cmp_gt_u32_e32 vcc, 62, v3
	v_add_u32_e32 v1, v4, v1
	v_cndmask_b32_e64 v4, 0, 1, vcc
	v_lshlrev_b32_e32 v4, 1, v4
	v_add_lshl_u32 v4, v4, v2, 2
	ds_bpermute_b32 v4, v4, v1
	v_cmp_gt_u32_e32 vcc, s7, v5
	v_add_u32_e32 v5, 4, v2
	s_waitcnt lgkmcnt(0)
	v_cndmask_b32_e32 v4, 0, v4, vcc
	v_cmp_gt_u32_e32 vcc, 60, v3
	v_add_u32_e32 v1, v1, v4
	v_cndmask_b32_e64 v4, 0, 1, vcc
	v_lshlrev_b32_e32 v4, 2, v4
	v_add_lshl_u32 v4, v4, v2, 2
	ds_bpermute_b32 v4, v4, v1
	;; [unrolled: 10-line block ×4, first 2 shown]
	v_cmp_gt_u32_e32 vcc, s7, v5
	s_waitcnt lgkmcnt(0)
	v_cndmask_b32_e32 v4, 0, v4, vcc
	v_cmp_gt_u32_e32 vcc, 32, v3
	v_cndmask_b32_e64 v3, 0, 1, vcc
	v_lshlrev_b32_e32 v3, 5, v3
	v_add_u32_e32 v1, v1, v4
	v_add_lshl_u32 v3, v3, v2, 2
	ds_bpermute_b32 v3, v3, v1
	v_add_u32_e32 v2, 32, v2
	v_cmp_gt_u32_e32 vcc, s7, v2
	s_waitcnt lgkmcnt(0)
	v_cndmask_b32_e32 v2, 0, v3, vcc
	v_add_u32_e32 v1, v1, v2
.LBB64_4:
	s_or_b64 exec, exec, s[0:1]
	s_mov_b32 s7, 0
	v_cmp_eq_u32_e32 vcc, 0, v0
	s_and_saveexec_b64 s[0:1], vcc
	s_cbranch_execz .LBB64_6
; %bb.5:
	s_lshl_b64 s[0:1], s[6:7], 2
	s_add_u32 s0, s2, s0
	s_addc_u32 s1, s3, s1
	v_mov_b32_e32 v0, 0
	s_waitcnt vmcnt(0)
	global_store_dword v0, v1, s[0:1]
.LBB64_6:
	s_endpgm
	.section	.rodata,"a",@progbits
	.p2align	6, 0x0
	.amdhsa_kernel _Z19reduce_valid_kernelILj64ELN6hipcub20BlockReduceAlgorithmE1EiEvPT1_S3_j
		.amdhsa_group_segment_fixed_size 256
		.amdhsa_private_segment_fixed_size 0
		.amdhsa_kernarg_size 20
		.amdhsa_user_sgpr_count 6
		.amdhsa_user_sgpr_private_segment_buffer 1
		.amdhsa_user_sgpr_dispatch_ptr 0
		.amdhsa_user_sgpr_queue_ptr 0
		.amdhsa_user_sgpr_kernarg_segment_ptr 1
		.amdhsa_user_sgpr_dispatch_id 0
		.amdhsa_user_sgpr_flat_scratch_init 0
		.amdhsa_user_sgpr_kernarg_preload_length 0
		.amdhsa_user_sgpr_kernarg_preload_offset 0
		.amdhsa_user_sgpr_private_segment_size 0
		.amdhsa_uses_dynamic_stack 0
		.amdhsa_system_sgpr_private_segment_wavefront_offset 0
		.amdhsa_system_sgpr_workgroup_id_x 1
		.amdhsa_system_sgpr_workgroup_id_y 0
		.amdhsa_system_sgpr_workgroup_id_z 0
		.amdhsa_system_sgpr_workgroup_info 0
		.amdhsa_system_vgpr_workitem_id 0
		.amdhsa_next_free_vgpr 6
		.amdhsa_next_free_sgpr 8
		.amdhsa_accum_offset 8
		.amdhsa_reserve_vcc 1
		.amdhsa_reserve_flat_scratch 0
		.amdhsa_float_round_mode_32 0
		.amdhsa_float_round_mode_16_64 0
		.amdhsa_float_denorm_mode_32 3
		.amdhsa_float_denorm_mode_16_64 3
		.amdhsa_dx10_clamp 1
		.amdhsa_ieee_mode 1
		.amdhsa_fp16_overflow 0
		.amdhsa_tg_split 0
		.amdhsa_exception_fp_ieee_invalid_op 0
		.amdhsa_exception_fp_denorm_src 0
		.amdhsa_exception_fp_ieee_div_zero 0
		.amdhsa_exception_fp_ieee_overflow 0
		.amdhsa_exception_fp_ieee_underflow 0
		.amdhsa_exception_fp_ieee_inexact 0
		.amdhsa_exception_int_div_zero 0
	.end_amdhsa_kernel
	.section	.text._Z19reduce_valid_kernelILj64ELN6hipcub20BlockReduceAlgorithmE1EiEvPT1_S3_j,"axG",@progbits,_Z19reduce_valid_kernelILj64ELN6hipcub20BlockReduceAlgorithmE1EiEvPT1_S3_j,comdat
.Lfunc_end64:
	.size	_Z19reduce_valid_kernelILj64ELN6hipcub20BlockReduceAlgorithmE1EiEvPT1_S3_j, .Lfunc_end64-_Z19reduce_valid_kernelILj64ELN6hipcub20BlockReduceAlgorithmE1EiEvPT1_S3_j
                                        ; -- End function
	.section	.AMDGPU.csdata,"",@progbits
; Kernel info:
; codeLenInByte = 496
; NumSgprs: 12
; NumVgprs: 6
; NumAgprs: 0
; TotalNumVgprs: 6
; ScratchSize: 0
; MemoryBound: 0
; FloatMode: 240
; IeeeMode: 1
; LDSByteSize: 256 bytes/workgroup (compile time only)
; SGPRBlocks: 1
; VGPRBlocks: 0
; NumSGPRsForWavesPerEU: 12
; NumVGPRsForWavesPerEU: 6
; AccumOffset: 8
; Occupancy: 8
; WaveLimiterHint : 0
; COMPUTE_PGM_RSRC2:SCRATCH_EN: 0
; COMPUTE_PGM_RSRC2:USER_SGPR: 6
; COMPUTE_PGM_RSRC2:TRAP_HANDLER: 0
; COMPUTE_PGM_RSRC2:TGID_X_EN: 1
; COMPUTE_PGM_RSRC2:TGID_Y_EN: 0
; COMPUTE_PGM_RSRC2:TGID_Z_EN: 0
; COMPUTE_PGM_RSRC2:TIDIG_COMP_CNT: 0
; COMPUTE_PGM_RSRC3_GFX90A:ACCUM_OFFSET: 1
; COMPUTE_PGM_RSRC3_GFX90A:TG_SPLIT: 0
	.section	.text._Z19reduce_valid_kernelILj377ELN6hipcub20BlockReduceAlgorithmE0ElEvPT1_S3_j,"axG",@progbits,_Z19reduce_valid_kernelILj377ELN6hipcub20BlockReduceAlgorithmE0ElEvPT1_S3_j,comdat
	.protected	_Z19reduce_valid_kernelILj377ELN6hipcub20BlockReduceAlgorithmE0ElEvPT1_S3_j ; -- Begin function _Z19reduce_valid_kernelILj377ELN6hipcub20BlockReduceAlgorithmE0ElEvPT1_S3_j
	.globl	_Z19reduce_valid_kernelILj377ELN6hipcub20BlockReduceAlgorithmE0ElEvPT1_S3_j
	.p2align	8
	.type	_Z19reduce_valid_kernelILj377ELN6hipcub20BlockReduceAlgorithmE0ElEvPT1_S3_j,@function
_Z19reduce_valid_kernelILj377ELN6hipcub20BlockReduceAlgorithmE0ElEvPT1_S3_j: ; @_Z19reduce_valid_kernelILj377ELN6hipcub20BlockReduceAlgorithmE0ElEvPT1_S3_j
; %bb.0:
	s_load_dwordx4 s[8:11], s[4:5], 0x0
	s_load_dword s2, s[4:5], 0x10
	s_mul_i32 s0, s6, 0x179
	v_add_u32_e32 v2, s0, v0
	v_mov_b32_e32 v3, 0
	v_lshlrev_b64 v[2:3], 3, v[2:3]
	s_waitcnt lgkmcnt(0)
	v_mov_b32_e32 v1, s9
	v_add_co_u32_e32 v2, vcc, s8, v2
	v_addc_co_u32_e32 v3, vcc, v1, v3, vcc
	global_load_dwordx2 v[2:3], v[2:3], off
	v_mbcnt_lo_u32_b32 v1, -1, 0
	v_mbcnt_hi_u32_b32 v1, -1, v1
	v_and_b32_e32 v5, 63, v1
	v_cmp_ne_u32_e32 vcc, 63, v5
	v_addc_co_u32_e32 v12, vcc, 0, v1, vcc
	v_lshlrev_b32_e32 v12, 2, v12
	v_cmp_gt_u32_e32 vcc, 62, v5
	v_cndmask_b32_e64 v13, 0, 1, vcc
	v_cmp_gt_u32_e32 vcc, 60, v5
	v_cndmask_b32_e64 v14, 0, 1, vcc
	;; [unrolled: 2-line block ×5, first 2 shown]
	v_and_b32_e32 v4, 0x1c0, v0
	v_add_u32_e32 v6, 1, v1
	v_sub_u32_e64 v4, s2, v4 clamp
	v_lshlrev_b32_e32 v13, 1, v13
	v_add_lshl_u32 v13, v13, v1, 2
	v_add_u32_e32 v7, 2, v1
	v_lshlrev_b32_e32 v14, 2, v14
	v_add_lshl_u32 v14, v14, v1, 2
	v_add_u32_e32 v8, 4, v1
	;; [unrolled: 3-line block ×5, first 2 shown]
	s_waitcnt vmcnt(0)
	ds_bpermute_b32 v17, v12, v2
	ds_bpermute_b32 v12, v12, v3
	s_waitcnt lgkmcnt(1)
	v_add_co_u32_e32 v17, vcc, v2, v17
	v_addc_co_u32_e32 v18, vcc, 0, v3, vcc
	v_add_co_u32_e32 v19, vcc, 0, v17
	s_waitcnt lgkmcnt(0)
	v_addc_co_u32_e32 v12, vcc, v12, v18, vcc
	v_cmp_lt_u32_e32 vcc, v6, v4
	v_cndmask_b32_e32 v6, v2, v17, vcc
	ds_bpermute_b32 v17, v13, v6
	v_cndmask_b32_e32 v12, v3, v12, vcc
	ds_bpermute_b32 v13, v13, v12
	v_cndmask_b32_e32 v18, v2, v19, vcc
	s_waitcnt lgkmcnt(1)
	v_add_co_u32_e64 v17, s[0:1], v17, v18
	s_waitcnt lgkmcnt(0)
	v_addc_co_u32_e64 v13, s[0:1], v13, v12, s[0:1]
	v_cmp_lt_u32_e64 s[0:1], v7, v4
	v_cndmask_b32_e64 v6, v6, v17, s[0:1]
	v_cndmask_b32_e64 v7, v12, v13, s[0:1]
	ds_bpermute_b32 v12, v14, v6
	ds_bpermute_b32 v14, v14, v7
	v_cndmask_b32_e64 v13, v18, v17, s[0:1]
	s_or_b64 s[0:1], vcc, s[0:1]
	s_waitcnt lgkmcnt(1)
	v_add_co_u32_e32 v12, vcc, v12, v13
	s_waitcnt lgkmcnt(0)
	v_addc_co_u32_e32 v14, vcc, v14, v7, vcc
	v_cmp_lt_u32_e32 vcc, v8, v4
	v_cndmask_b32_e32 v6, v6, v12, vcc
	v_cndmask_b32_e32 v7, v7, v14, vcc
	ds_bpermute_b32 v8, v15, v6
	v_cndmask_b32_e32 v12, v13, v12, vcc
	ds_bpermute_b32 v13, v15, v7
	s_or_b64 s[0:1], vcc, s[0:1]
	s_waitcnt lgkmcnt(1)
	v_add_co_u32_e32 v8, vcc, v8, v12
	s_waitcnt lgkmcnt(0)
	v_addc_co_u32_e32 v13, vcc, v13, v7, vcc
	v_cmp_lt_u32_e32 vcc, v9, v4
	v_cndmask_b32_e32 v6, v6, v8, vcc
	v_cndmask_b32_e32 v7, v7, v13, vcc
	ds_bpermute_b32 v9, v16, v6
	v_cndmask_b32_e32 v8, v12, v8, vcc
	ds_bpermute_b32 v12, v16, v7
	s_or_b64 s[0:1], vcc, s[0:1]
	s_waitcnt lgkmcnt(1)
	v_add_co_u32_e32 v9, vcc, v9, v8
	s_waitcnt lgkmcnt(0)
	v_addc_co_u32_e32 v12, vcc, v12, v7, vcc
	v_cmp_lt_u32_e32 vcc, v10, v4
	v_cndmask_b32_e32 v6, v6, v9, vcc
	v_cndmask_b32_e32 v7, v7, v12, vcc
	ds_bpermute_b32 v10, v5, v7
	ds_bpermute_b32 v5, v5, v6
	s_or_b64 s[4:5], vcc, s[0:1]
	v_cndmask_b32_e32 v6, v8, v9, vcc
	v_cmp_lt_u32_e32 vcc, v11, v4
	s_waitcnt lgkmcnt(1)
	v_cndmask_b32_e32 v4, 0, v10, vcc
	s_waitcnt lgkmcnt(0)
	v_cndmask_b32_e32 v5, 0, v5, vcc
	v_add_co_u32_e64 v5, s[0:1], v5, v6
	v_addc_co_u32_e64 v4, s[0:1], v4, v7, s[0:1]
	s_or_b64 vcc, vcc, s[4:5]
	v_cndmask_b32_e32 v3, v3, v4, vcc
	v_cndmask_b32_e32 v2, v2, v5, vcc
	v_cmp_eq_u32_e32 vcc, 0, v1
	s_and_saveexec_b64 s[0:1], vcc
	s_cbranch_execz .LBB65_2
; %bb.1:
	v_lshrrev_b32_e32 v4, 3, v0
	v_and_b32_e32 v4, 56, v4
	ds_write_b64 v4, v[2:3]
.LBB65_2:
	s_or_b64 exec, exec, s[0:1]
	v_cmp_gt_u32_e32 vcc, 6, v0
	s_waitcnt lgkmcnt(0)
	s_barrier
	s_and_saveexec_b64 s[4:5], vcc
	s_cbranch_execz .LBB65_6
; %bb.3:
	v_lshlrev_b32_e32 v2, 3, v1
	ds_read_b64 v[2:3], v2
	v_and_b32_e32 v4, 7, v1
	v_cmp_ne_u32_e32 vcc, 7, v4
	v_addc_co_u32_e32 v5, vcc, 0, v1, vcc
	v_lshlrev_b32_e32 v5, 2, v5
	s_waitcnt lgkmcnt(0)
	ds_bpermute_b32 v6, v5, v2
	ds_bpermute_b32 v8, v5, v3
	s_add_i32 s2, s2, 63
	s_lshr_b32 s7, s2, 6
	v_add_u32_e32 v7, 1, v4
	s_waitcnt lgkmcnt(1)
	v_add_co_u32_e32 v9, vcc, v2, v6
	v_addc_co_u32_e32 v6, vcc, 0, v3, vcc
	v_add_co_u32_e32 v5, vcc, 0, v9
	s_waitcnt lgkmcnt(0)
	v_addc_co_u32_e32 v6, vcc, v8, v6, vcc
	v_cmp_gt_u32_e32 vcc, 6, v4
	v_cmp_gt_u32_e64 s[0:1], s7, v7
	v_cndmask_b32_e64 v7, 0, 1, vcc
	v_lshlrev_b32_e32 v7, 1, v7
	v_cndmask_b32_e64 v9, v2, v9, s[0:1]
	v_add_lshl_u32 v7, v7, v1, 2
	v_cndmask_b32_e64 v10, v3, v6, s[0:1]
	ds_bpermute_b32 v8, v7, v9
	ds_bpermute_b32 v12, v7, v10
	v_cndmask_b32_e64 v11, v2, v5, s[0:1]
	v_cmp_gt_u32_e64 s[2:3], 4, v4
	v_add_u32_e32 v13, 2, v4
	s_waitcnt lgkmcnt(1)
	v_add_co_u32_e32 v7, vcc, v8, v11
	s_waitcnt lgkmcnt(0)
	v_addc_co_u32_e32 v8, vcc, v12, v10, vcc
	v_cndmask_b32_e64 v11, 0, 1, s[2:3]
	v_cmp_gt_u32_e32 vcc, s7, v13
	v_lshlrev_b32_e32 v11, 2, v11
	v_cndmask_b32_e32 v10, v10, v8, vcc
	v_cndmask_b32_e32 v9, v9, v7, vcc
	v_add_lshl_u32 v11, v11, v1, 2
	ds_bpermute_b32 v1, v11, v9
	ds_bpermute_b32 v9, v11, v10
	s_and_saveexec_b64 s[2:3], s[0:1]
	s_cbranch_execz .LBB65_5
; %bb.4:
	v_add_u32_e32 v2, 4, v4
	v_cndmask_b32_e32 v3, v6, v8, vcc
	v_cndmask_b32_e32 v4, v5, v7, vcc
	v_cmp_gt_u32_e32 vcc, s7, v2
	s_waitcnt lgkmcnt(1)
	v_cndmask_b32_e32 v1, 0, v1, vcc
	s_waitcnt lgkmcnt(0)
	v_cndmask_b32_e32 v5, 0, v9, vcc
	v_add_co_u32_e32 v2, vcc, v1, v4
	v_addc_co_u32_e32 v3, vcc, v5, v3, vcc
.LBB65_5:
	s_or_b64 exec, exec, s[2:3]
.LBB65_6:
	s_or_b64 exec, exec, s[4:5]
	s_mov_b32 s7, 0
	v_cmp_eq_u32_e32 vcc, 0, v0
	s_and_saveexec_b64 s[0:1], vcc
	s_cbranch_execz .LBB65_8
; %bb.7:
	s_lshl_b64 s[0:1], s[6:7], 3
	s_add_u32 s0, s10, s0
	s_addc_u32 s1, s11, s1
	v_mov_b32_e32 v0, 0
	global_store_dwordx2 v0, v[2:3], s[0:1]
.LBB65_8:
	s_endpgm
	.section	.rodata,"a",@progbits
	.p2align	6, 0x0
	.amdhsa_kernel _Z19reduce_valid_kernelILj377ELN6hipcub20BlockReduceAlgorithmE0ElEvPT1_S3_j
		.amdhsa_group_segment_fixed_size 48
		.amdhsa_private_segment_fixed_size 0
		.amdhsa_kernarg_size 20
		.amdhsa_user_sgpr_count 6
		.amdhsa_user_sgpr_private_segment_buffer 1
		.amdhsa_user_sgpr_dispatch_ptr 0
		.amdhsa_user_sgpr_queue_ptr 0
		.amdhsa_user_sgpr_kernarg_segment_ptr 1
		.amdhsa_user_sgpr_dispatch_id 0
		.amdhsa_user_sgpr_flat_scratch_init 0
		.amdhsa_user_sgpr_kernarg_preload_length 0
		.amdhsa_user_sgpr_kernarg_preload_offset 0
		.amdhsa_user_sgpr_private_segment_size 0
		.amdhsa_uses_dynamic_stack 0
		.amdhsa_system_sgpr_private_segment_wavefront_offset 0
		.amdhsa_system_sgpr_workgroup_id_x 1
		.amdhsa_system_sgpr_workgroup_id_y 0
		.amdhsa_system_sgpr_workgroup_id_z 0
		.amdhsa_system_sgpr_workgroup_info 0
		.amdhsa_system_vgpr_workitem_id 0
		.amdhsa_next_free_vgpr 20
		.amdhsa_next_free_sgpr 12
		.amdhsa_accum_offset 20
		.amdhsa_reserve_vcc 1
		.amdhsa_reserve_flat_scratch 0
		.amdhsa_float_round_mode_32 0
		.amdhsa_float_round_mode_16_64 0
		.amdhsa_float_denorm_mode_32 3
		.amdhsa_float_denorm_mode_16_64 3
		.amdhsa_dx10_clamp 1
		.amdhsa_ieee_mode 1
		.amdhsa_fp16_overflow 0
		.amdhsa_tg_split 0
		.amdhsa_exception_fp_ieee_invalid_op 0
		.amdhsa_exception_fp_denorm_src 0
		.amdhsa_exception_fp_ieee_div_zero 0
		.amdhsa_exception_fp_ieee_overflow 0
		.amdhsa_exception_fp_ieee_underflow 0
		.amdhsa_exception_fp_ieee_inexact 0
		.amdhsa_exception_int_div_zero 0
	.end_amdhsa_kernel
	.section	.text._Z19reduce_valid_kernelILj377ELN6hipcub20BlockReduceAlgorithmE0ElEvPT1_S3_j,"axG",@progbits,_Z19reduce_valid_kernelILj377ELN6hipcub20BlockReduceAlgorithmE0ElEvPT1_S3_j,comdat
.Lfunc_end65:
	.size	_Z19reduce_valid_kernelILj377ELN6hipcub20BlockReduceAlgorithmE0ElEvPT1_S3_j, .Lfunc_end65-_Z19reduce_valid_kernelILj377ELN6hipcub20BlockReduceAlgorithmE0ElEvPT1_S3_j
                                        ; -- End function
	.section	.AMDGPU.csdata,"",@progbits
; Kernel info:
; codeLenInByte = 996
; NumSgprs: 16
; NumVgprs: 20
; NumAgprs: 0
; TotalNumVgprs: 20
; ScratchSize: 0
; MemoryBound: 0
; FloatMode: 240
; IeeeMode: 1
; LDSByteSize: 48 bytes/workgroup (compile time only)
; SGPRBlocks: 1
; VGPRBlocks: 2
; NumSGPRsForWavesPerEU: 16
; NumVGPRsForWavesPerEU: 20
; AccumOffset: 20
; Occupancy: 8
; WaveLimiterHint : 0
; COMPUTE_PGM_RSRC2:SCRATCH_EN: 0
; COMPUTE_PGM_RSRC2:USER_SGPR: 6
; COMPUTE_PGM_RSRC2:TRAP_HANDLER: 0
; COMPUTE_PGM_RSRC2:TGID_X_EN: 1
; COMPUTE_PGM_RSRC2:TGID_Y_EN: 0
; COMPUTE_PGM_RSRC2:TGID_Z_EN: 0
; COMPUTE_PGM_RSRC2:TIDIG_COMP_CNT: 0
; COMPUTE_PGM_RSRC3_GFX90A:ACCUM_OFFSET: 4
; COMPUTE_PGM_RSRC3_GFX90A:TG_SPLIT: 0
	.section	.text._Z19reduce_valid_kernelILj256ELN6hipcub20BlockReduceAlgorithmE0ElEvPT1_S3_j,"axG",@progbits,_Z19reduce_valid_kernelILj256ELN6hipcub20BlockReduceAlgorithmE0ElEvPT1_S3_j,comdat
	.protected	_Z19reduce_valid_kernelILj256ELN6hipcub20BlockReduceAlgorithmE0ElEvPT1_S3_j ; -- Begin function _Z19reduce_valid_kernelILj256ELN6hipcub20BlockReduceAlgorithmE0ElEvPT1_S3_j
	.globl	_Z19reduce_valid_kernelILj256ELN6hipcub20BlockReduceAlgorithmE0ElEvPT1_S3_j
	.p2align	8
	.type	_Z19reduce_valid_kernelILj256ELN6hipcub20BlockReduceAlgorithmE0ElEvPT1_S3_j,@function
_Z19reduce_valid_kernelILj256ELN6hipcub20BlockReduceAlgorithmE0ElEvPT1_S3_j: ; @_Z19reduce_valid_kernelILj256ELN6hipcub20BlockReduceAlgorithmE0ElEvPT1_S3_j
; %bb.0:
	s_load_dwordx4 s[0:3], s[4:5], 0x0
	s_load_dword s7, s[4:5], 0x10
	v_lshl_or_b32 v2, s6, 8, v0
	v_mov_b32_e32 v3, 0
	v_lshlrev_b64 v[2:3], 3, v[2:3]
	s_waitcnt lgkmcnt(0)
	v_mov_b32_e32 v1, s1
	v_add_co_u32_e32 v2, vcc, s0, v2
	v_addc_co_u32_e32 v3, vcc, v1, v3, vcc
	global_load_dwordx2 v[2:3], v[2:3], off
	v_mbcnt_lo_u32_b32 v1, -1, 0
	v_mbcnt_hi_u32_b32 v1, -1, v1
	v_and_b32_e32 v5, 63, v1
	v_cmp_ne_u32_e32 vcc, 63, v5
	v_addc_co_u32_e32 v12, vcc, 0, v1, vcc
	v_lshlrev_b32_e32 v12, 2, v12
	v_cmp_gt_u32_e32 vcc, 62, v5
	v_cndmask_b32_e64 v13, 0, 1, vcc
	v_cmp_gt_u32_e32 vcc, 60, v5
	v_cndmask_b32_e64 v14, 0, 1, vcc
	;; [unrolled: 2-line block ×5, first 2 shown]
	v_and_b32_e32 v4, 0xc0, v0
	v_add_u32_e32 v6, 1, v1
	v_sub_u32_e64 v4, s7, v4 clamp
	v_lshlrev_b32_e32 v13, 1, v13
	v_add_lshl_u32 v13, v13, v1, 2
	v_add_u32_e32 v7, 2, v1
	v_lshlrev_b32_e32 v14, 2, v14
	v_add_lshl_u32 v14, v14, v1, 2
	v_add_u32_e32 v8, 4, v1
	;; [unrolled: 3-line block ×5, first 2 shown]
	s_waitcnt vmcnt(0)
	ds_bpermute_b32 v17, v12, v2
	ds_bpermute_b32 v12, v12, v3
	s_waitcnt lgkmcnt(1)
	v_add_co_u32_e32 v17, vcc, v2, v17
	v_addc_co_u32_e32 v18, vcc, 0, v3, vcc
	v_add_co_u32_e32 v19, vcc, 0, v17
	s_waitcnt lgkmcnt(0)
	v_addc_co_u32_e32 v12, vcc, v12, v18, vcc
	v_cmp_lt_u32_e32 vcc, v6, v4
	v_cndmask_b32_e32 v6, v2, v17, vcc
	ds_bpermute_b32 v17, v13, v6
	v_cndmask_b32_e32 v12, v3, v12, vcc
	ds_bpermute_b32 v13, v13, v12
	v_cndmask_b32_e32 v18, v2, v19, vcc
	s_waitcnt lgkmcnt(1)
	v_add_co_u32_e64 v17, s[0:1], v17, v18
	s_waitcnt lgkmcnt(0)
	v_addc_co_u32_e64 v13, s[0:1], v13, v12, s[0:1]
	v_cmp_lt_u32_e64 s[0:1], v7, v4
	v_cndmask_b32_e64 v6, v6, v17, s[0:1]
	v_cndmask_b32_e64 v7, v12, v13, s[0:1]
	ds_bpermute_b32 v12, v14, v6
	ds_bpermute_b32 v14, v14, v7
	v_cndmask_b32_e64 v13, v18, v17, s[0:1]
	s_or_b64 s[0:1], vcc, s[0:1]
	s_waitcnt lgkmcnt(1)
	v_add_co_u32_e32 v12, vcc, v12, v13
	s_waitcnt lgkmcnt(0)
	v_addc_co_u32_e32 v14, vcc, v14, v7, vcc
	v_cmp_lt_u32_e32 vcc, v8, v4
	v_cndmask_b32_e32 v6, v6, v12, vcc
	v_cndmask_b32_e32 v7, v7, v14, vcc
	ds_bpermute_b32 v8, v15, v6
	v_cndmask_b32_e32 v12, v13, v12, vcc
	ds_bpermute_b32 v13, v15, v7
	s_or_b64 s[0:1], vcc, s[0:1]
	s_waitcnt lgkmcnt(1)
	v_add_co_u32_e32 v8, vcc, v8, v12
	s_waitcnt lgkmcnt(0)
	v_addc_co_u32_e32 v13, vcc, v13, v7, vcc
	v_cmp_lt_u32_e32 vcc, v9, v4
	v_cndmask_b32_e32 v6, v6, v8, vcc
	v_cndmask_b32_e32 v7, v7, v13, vcc
	ds_bpermute_b32 v9, v16, v6
	v_cndmask_b32_e32 v8, v12, v8, vcc
	ds_bpermute_b32 v12, v16, v7
	s_or_b64 s[0:1], vcc, s[0:1]
	s_waitcnt lgkmcnt(1)
	v_add_co_u32_e32 v9, vcc, v9, v8
	s_waitcnt lgkmcnt(0)
	v_addc_co_u32_e32 v12, vcc, v12, v7, vcc
	v_cmp_lt_u32_e32 vcc, v10, v4
	v_cndmask_b32_e32 v6, v6, v9, vcc
	v_cndmask_b32_e32 v7, v7, v12, vcc
	ds_bpermute_b32 v10, v5, v7
	ds_bpermute_b32 v5, v5, v6
	s_or_b64 s[4:5], vcc, s[0:1]
	v_cndmask_b32_e32 v6, v8, v9, vcc
	v_cmp_lt_u32_e32 vcc, v11, v4
	s_waitcnt lgkmcnt(1)
	v_cndmask_b32_e32 v4, 0, v10, vcc
	s_waitcnt lgkmcnt(0)
	v_cndmask_b32_e32 v5, 0, v5, vcc
	v_add_co_u32_e64 v5, s[0:1], v5, v6
	v_addc_co_u32_e64 v4, s[0:1], v4, v7, s[0:1]
	s_or_b64 vcc, vcc, s[4:5]
	v_cndmask_b32_e32 v3, v3, v4, vcc
	v_cndmask_b32_e32 v2, v2, v5, vcc
	v_cmp_eq_u32_e32 vcc, 0, v1
	s_and_saveexec_b64 s[0:1], vcc
	s_cbranch_execz .LBB66_2
; %bb.1:
	v_lshrrev_b32_e32 v4, 3, v0
	v_and_b32_e32 v4, 24, v4
	ds_write_b64 v4, v[2:3]
.LBB66_2:
	s_or_b64 exec, exec, s[0:1]
	v_cmp_gt_u32_e32 vcc, 4, v0
	s_waitcnt lgkmcnt(0)
	s_barrier
	s_and_saveexec_b64 s[4:5], vcc
	s_cbranch_execz .LBB66_6
; %bb.3:
	v_lshlrev_b32_e32 v2, 3, v1
	ds_read_b64 v[2:3], v2
	v_and_b32_e32 v4, 3, v1
	v_cmp_ne_u32_e32 vcc, 3, v4
	v_addc_co_u32_e32 v5, vcc, 0, v1, vcc
	v_lshlrev_b32_e32 v5, 2, v5
	s_waitcnt lgkmcnt(0)
	ds_bpermute_b32 v6, v5, v2
	ds_bpermute_b32 v8, v5, v3
	s_add_i32 s7, s7, 63
	s_lshr_b32 s7, s7, 6
	v_add_u32_e32 v7, 1, v4
	s_waitcnt lgkmcnt(1)
	v_add_co_u32_e32 v9, vcc, v2, v6
	v_addc_co_u32_e32 v6, vcc, 0, v3, vcc
	v_add_co_u32_e32 v5, vcc, 0, v9
	s_waitcnt lgkmcnt(0)
	v_addc_co_u32_e32 v6, vcc, v8, v6, vcc
	v_cmp_gt_u32_e32 vcc, s7, v7
	v_cmp_gt_u32_e64 s[0:1], 2, v4
	v_cndmask_b32_e32 v8, v2, v9, vcc
	v_cndmask_b32_e64 v9, 0, 1, s[0:1]
	v_lshlrev_b32_e32 v9, 1, v9
	v_cndmask_b32_e32 v7, v3, v6, vcc
	v_add_lshl_u32 v9, v9, v1, 2
	ds_bpermute_b32 v1, v9, v8
	ds_bpermute_b32 v7, v9, v7
	s_and_saveexec_b64 s[0:1], vcc
	s_cbranch_execz .LBB66_5
; %bb.4:
	v_add_u32_e32 v2, 2, v4
	v_cmp_gt_u32_e32 vcc, s7, v2
	s_waitcnt lgkmcnt(1)
	v_cndmask_b32_e32 v1, 0, v1, vcc
	s_waitcnt lgkmcnt(0)
	v_cndmask_b32_e32 v3, 0, v7, vcc
	v_add_co_u32_e32 v2, vcc, v1, v5
	v_addc_co_u32_e32 v3, vcc, v3, v6, vcc
.LBB66_5:
	s_or_b64 exec, exec, s[0:1]
.LBB66_6:
	s_or_b64 exec, exec, s[4:5]
	s_mov_b32 s7, 0
	v_cmp_eq_u32_e32 vcc, 0, v0
	s_and_saveexec_b64 s[0:1], vcc
	s_cbranch_execz .LBB66_8
; %bb.7:
	s_lshl_b64 s[0:1], s[6:7], 3
	s_add_u32 s0, s2, s0
	s_addc_u32 s1, s3, s1
	v_mov_b32_e32 v0, 0
	global_store_dwordx2 v0, v[2:3], s[0:1]
.LBB66_8:
	s_endpgm
	.section	.rodata,"a",@progbits
	.p2align	6, 0x0
	.amdhsa_kernel _Z19reduce_valid_kernelILj256ELN6hipcub20BlockReduceAlgorithmE0ElEvPT1_S3_j
		.amdhsa_group_segment_fixed_size 32
		.amdhsa_private_segment_fixed_size 0
		.amdhsa_kernarg_size 20
		.amdhsa_user_sgpr_count 6
		.amdhsa_user_sgpr_private_segment_buffer 1
		.amdhsa_user_sgpr_dispatch_ptr 0
		.amdhsa_user_sgpr_queue_ptr 0
		.amdhsa_user_sgpr_kernarg_segment_ptr 1
		.amdhsa_user_sgpr_dispatch_id 0
		.amdhsa_user_sgpr_flat_scratch_init 0
		.amdhsa_user_sgpr_kernarg_preload_length 0
		.amdhsa_user_sgpr_kernarg_preload_offset 0
		.amdhsa_user_sgpr_private_segment_size 0
		.amdhsa_uses_dynamic_stack 0
		.amdhsa_system_sgpr_private_segment_wavefront_offset 0
		.amdhsa_system_sgpr_workgroup_id_x 1
		.amdhsa_system_sgpr_workgroup_id_y 0
		.amdhsa_system_sgpr_workgroup_id_z 0
		.amdhsa_system_sgpr_workgroup_info 0
		.amdhsa_system_vgpr_workitem_id 0
		.amdhsa_next_free_vgpr 20
		.amdhsa_next_free_sgpr 8
		.amdhsa_accum_offset 20
		.amdhsa_reserve_vcc 1
		.amdhsa_reserve_flat_scratch 0
		.amdhsa_float_round_mode_32 0
		.amdhsa_float_round_mode_16_64 0
		.amdhsa_float_denorm_mode_32 3
		.amdhsa_float_denorm_mode_16_64 3
		.amdhsa_dx10_clamp 1
		.amdhsa_ieee_mode 1
		.amdhsa_fp16_overflow 0
		.amdhsa_tg_split 0
		.amdhsa_exception_fp_ieee_invalid_op 0
		.amdhsa_exception_fp_denorm_src 0
		.amdhsa_exception_fp_ieee_div_zero 0
		.amdhsa_exception_fp_ieee_overflow 0
		.amdhsa_exception_fp_ieee_underflow 0
		.amdhsa_exception_fp_ieee_inexact 0
		.amdhsa_exception_int_div_zero 0
	.end_amdhsa_kernel
	.section	.text._Z19reduce_valid_kernelILj256ELN6hipcub20BlockReduceAlgorithmE0ElEvPT1_S3_j,"axG",@progbits,_Z19reduce_valid_kernelILj256ELN6hipcub20BlockReduceAlgorithmE0ElEvPT1_S3_j,comdat
.Lfunc_end66:
	.size	_Z19reduce_valid_kernelILj256ELN6hipcub20BlockReduceAlgorithmE0ElEvPT1_S3_j, .Lfunc_end66-_Z19reduce_valid_kernelILj256ELN6hipcub20BlockReduceAlgorithmE0ElEvPT1_S3_j
                                        ; -- End function
	.section	.AMDGPU.csdata,"",@progbits
; Kernel info:
; codeLenInByte = 892
; NumSgprs: 12
; NumVgprs: 20
; NumAgprs: 0
; TotalNumVgprs: 20
; ScratchSize: 0
; MemoryBound: 0
; FloatMode: 240
; IeeeMode: 1
; LDSByteSize: 32 bytes/workgroup (compile time only)
; SGPRBlocks: 1
; VGPRBlocks: 2
; NumSGPRsForWavesPerEU: 12
; NumVGPRsForWavesPerEU: 20
; AccumOffset: 20
; Occupancy: 8
; WaveLimiterHint : 0
; COMPUTE_PGM_RSRC2:SCRATCH_EN: 0
; COMPUTE_PGM_RSRC2:USER_SGPR: 6
; COMPUTE_PGM_RSRC2:TRAP_HANDLER: 0
; COMPUTE_PGM_RSRC2:TGID_X_EN: 1
; COMPUTE_PGM_RSRC2:TGID_Y_EN: 0
; COMPUTE_PGM_RSRC2:TGID_Z_EN: 0
; COMPUTE_PGM_RSRC2:TIDIG_COMP_CNT: 0
; COMPUTE_PGM_RSRC3_GFX90A:ACCUM_OFFSET: 4
; COMPUTE_PGM_RSRC3_GFX90A:TG_SPLIT: 0
	.section	.text._Z19reduce_valid_kernelILj64ELN6hipcub20BlockReduceAlgorithmE0ElEvPT1_S3_j,"axG",@progbits,_Z19reduce_valid_kernelILj64ELN6hipcub20BlockReduceAlgorithmE0ElEvPT1_S3_j,comdat
	.protected	_Z19reduce_valid_kernelILj64ELN6hipcub20BlockReduceAlgorithmE0ElEvPT1_S3_j ; -- Begin function _Z19reduce_valid_kernelILj64ELN6hipcub20BlockReduceAlgorithmE0ElEvPT1_S3_j
	.globl	_Z19reduce_valid_kernelILj64ELN6hipcub20BlockReduceAlgorithmE0ElEvPT1_S3_j
	.p2align	8
	.type	_Z19reduce_valid_kernelILj64ELN6hipcub20BlockReduceAlgorithmE0ElEvPT1_S3_j,@function
_Z19reduce_valid_kernelILj64ELN6hipcub20BlockReduceAlgorithmE0ElEvPT1_S3_j: ; @_Z19reduce_valid_kernelILj64ELN6hipcub20BlockReduceAlgorithmE0ElEvPT1_S3_j
; %bb.0:
	s_load_dwordx4 s[12:15], s[4:5], 0x0
	s_load_dword s16, s[4:5], 0x10
	v_lshl_or_b32 v2, s6, 6, v0
	v_mov_b32_e32 v3, 0
	v_lshlrev_b64 v[4:5], 3, v[2:3]
	s_waitcnt lgkmcnt(0)
	v_mov_b32_e32 v1, s13
	v_add_co_u32_e32 v4, vcc, s12, v4
	v_addc_co_u32_e32 v5, vcc, v1, v5, vcc
	global_load_dwordx2 v[4:5], v[4:5], off
	v_mbcnt_lo_u32_b32 v1, -1, 0
	v_mbcnt_hi_u32_b32 v6, -1, v1
	v_and_b32_e32 v1, 63, v6
	v_cmp_ne_u32_e32 vcc, 63, v1
	v_addc_co_u32_e32 v11, vcc, 0, v6, vcc
	v_cmp_gt_u32_e32 vcc, 62, v1
	v_cndmask_b32_e64 v12, 0, 1, vcc
	v_cmp_gt_u32_e32 vcc, 60, v1
	v_cndmask_b32_e64 v13, 0, 1, vcc
	;; [unrolled: 2-line block ×3, first 2 shown]
	v_cmp_gt_u32_e32 vcc, 48, v1
	v_lshlrev_b32_e32 v11, 2, v11
	v_cndmask_b32_e64 v15, 0, 1, vcc
	v_cmp_gt_u32_e32 vcc, 32, v1
	v_cndmask_b32_e64 v1, 0, 1, vcc
	v_lshlrev_b32_e32 v1, 5, v1
	v_add_lshl_u32 v17, v1, v6, 2
	v_add_u32_e32 v2, 1, v6
	v_lshlrev_b32_e32 v12, 1, v12
	v_add_lshl_u32 v12, v12, v6, 2
	v_add_u32_e32 v7, 2, v6
	v_lshlrev_b32_e32 v13, 2, v13
	v_add_lshl_u32 v13, v13, v6, 2
	v_add_u32_e32 v8, 4, v6
	v_lshlrev_b32_e32 v14, 3, v14
	v_add_lshl_u32 v14, v14, v6, 2
	v_add_u32_e32 v9, 8, v6
	v_lshlrev_b32_e32 v15, 4, v15
	v_add_lshl_u32 v15, v15, v6, 2
	v_add_u32_e32 v10, 16, v6
	s_mov_b32 s7, 0
	v_cmp_eq_u32_e64 s[10:11], 0, v0
	s_waitcnt vmcnt(0)
	ds_bpermute_b32 v16, v11, v4
	ds_bpermute_b32 v1, v11, v5
	s_waitcnt lgkmcnt(1)
	v_add_co_u32_e32 v11, vcc, v4, v16
	v_addc_co_u32_e32 v16, vcc, 0, v5, vcc
	v_add_co_u32_e32 v18, vcc, 0, v11
	s_waitcnt lgkmcnt(0)
	v_addc_co_u32_e32 v1, vcc, v1, v16, vcc
	v_cmp_gt_u32_e32 vcc, s16, v2
	v_cndmask_b32_e32 v2, v4, v11, vcc
	ds_bpermute_b32 v11, v12, v2
	v_cndmask_b32_e32 v1, v5, v1, vcc
	ds_bpermute_b32 v12, v12, v1
	v_cndmask_b32_e32 v16, v4, v18, vcc
	s_waitcnt lgkmcnt(1)
	v_add_co_u32_e64 v11, s[0:1], v11, v16
	s_waitcnt lgkmcnt(0)
	v_addc_co_u32_e64 v12, s[0:1], v12, v1, s[0:1]
	v_cmp_gt_u32_e64 s[0:1], s16, v7
	v_cndmask_b32_e64 v2, v2, v11, s[0:1]
	ds_bpermute_b32 v7, v13, v2
	v_cndmask_b32_e64 v1, v1, v12, s[0:1]
	ds_bpermute_b32 v12, v13, v1
	v_cndmask_b32_e64 v11, v16, v11, s[0:1]
	s_waitcnt lgkmcnt(1)
	v_add_co_u32_e64 v7, s[2:3], v7, v11
	s_waitcnt lgkmcnt(0)
	v_addc_co_u32_e64 v12, s[2:3], v12, v1, s[2:3]
	v_cmp_gt_u32_e64 s[2:3], s16, v8
	v_cndmask_b32_e64 v2, v2, v7, s[2:3]
	ds_bpermute_b32 v8, v14, v2
	v_cndmask_b32_e64 v1, v1, v12, s[2:3]
	ds_bpermute_b32 v12, v14, v1
	v_cndmask_b32_e64 v7, v11, v7, s[2:3]
	;; [unrolled: 10-line block ×3, first 2 shown]
	s_waitcnt lgkmcnt(1)
	v_add_co_u32_e64 v7, s[8:9], v12, v2
	s_waitcnt lgkmcnt(0)
	v_addc_co_u32_e64 v8, s[8:9], v11, v1, s[8:9]
	v_cmp_gt_u32_e64 s[8:9], s16, v10
	v_cndmask_b32_e64 v10, v1, v8, s[8:9]
	v_cndmask_b32_e64 v9, v9, v7, s[8:9]
	ds_bpermute_b32 v9, v17, v9
	ds_bpermute_b32 v10, v17, v10
	s_and_saveexec_b64 s[12:13], s[10:11]
	s_cbranch_execz .LBB67_2
; %bb.1:
	s_lshl_b64 s[6:7], s[6:7], 3
	s_add_u32 s6, s14, s6
	s_addc_u32 s7, s15, s7
	v_add_u32_e32 v0, 32, v6
	s_or_b64 s[0:1], vcc, s[0:1]
	s_or_b64 s[0:1], s[2:3], s[0:1]
	v_cmp_gt_u32_e32 vcc, s16, v0
	s_or_b64 s[0:1], s[4:5], s[0:1]
	s_waitcnt lgkmcnt(1)
	v_cndmask_b32_e32 v6, 0, v9, vcc
	v_cndmask_b32_e64 v2, v2, v7, s[8:9]
	s_or_b64 s[2:3], s[8:9], s[0:1]
	s_waitcnt lgkmcnt(0)
	v_cndmask_b32_e32 v0, 0, v10, vcc
	v_cndmask_b32_e64 v1, v1, v8, s[8:9]
	v_add_co_u32_e64 v2, s[0:1], v6, v2
	v_addc_co_u32_e64 v0, s[0:1], v0, v1, s[0:1]
	s_or_b64 vcc, vcc, s[2:3]
	v_cndmask_b32_e32 v1, v5, v0, vcc
	v_cndmask_b32_e32 v0, v4, v2, vcc
	global_store_dwordx2 v3, v[0:1], s[6:7]
.LBB67_2:
	s_endpgm
	.section	.rodata,"a",@progbits
	.p2align	6, 0x0
	.amdhsa_kernel _Z19reduce_valid_kernelILj64ELN6hipcub20BlockReduceAlgorithmE0ElEvPT1_S3_j
		.amdhsa_group_segment_fixed_size 0
		.amdhsa_private_segment_fixed_size 0
		.amdhsa_kernarg_size 20
		.amdhsa_user_sgpr_count 6
		.amdhsa_user_sgpr_private_segment_buffer 1
		.amdhsa_user_sgpr_dispatch_ptr 0
		.amdhsa_user_sgpr_queue_ptr 0
		.amdhsa_user_sgpr_kernarg_segment_ptr 1
		.amdhsa_user_sgpr_dispatch_id 0
		.amdhsa_user_sgpr_flat_scratch_init 0
		.amdhsa_user_sgpr_kernarg_preload_length 0
		.amdhsa_user_sgpr_kernarg_preload_offset 0
		.amdhsa_user_sgpr_private_segment_size 0
		.amdhsa_uses_dynamic_stack 0
		.amdhsa_system_sgpr_private_segment_wavefront_offset 0
		.amdhsa_system_sgpr_workgroup_id_x 1
		.amdhsa_system_sgpr_workgroup_id_y 0
		.amdhsa_system_sgpr_workgroup_id_z 0
		.amdhsa_system_sgpr_workgroup_info 0
		.amdhsa_system_vgpr_workitem_id 0
		.amdhsa_next_free_vgpr 19
		.amdhsa_next_free_sgpr 17
		.amdhsa_accum_offset 20
		.amdhsa_reserve_vcc 1
		.amdhsa_reserve_flat_scratch 0
		.amdhsa_float_round_mode_32 0
		.amdhsa_float_round_mode_16_64 0
		.amdhsa_float_denorm_mode_32 3
		.amdhsa_float_denorm_mode_16_64 3
		.amdhsa_dx10_clamp 1
		.amdhsa_ieee_mode 1
		.amdhsa_fp16_overflow 0
		.amdhsa_tg_split 0
		.amdhsa_exception_fp_ieee_invalid_op 0
		.amdhsa_exception_fp_denorm_src 0
		.amdhsa_exception_fp_ieee_div_zero 0
		.amdhsa_exception_fp_ieee_overflow 0
		.amdhsa_exception_fp_ieee_underflow 0
		.amdhsa_exception_fp_ieee_inexact 0
		.amdhsa_exception_int_div_zero 0
	.end_amdhsa_kernel
	.section	.text._Z19reduce_valid_kernelILj64ELN6hipcub20BlockReduceAlgorithmE0ElEvPT1_S3_j,"axG",@progbits,_Z19reduce_valid_kernelILj64ELN6hipcub20BlockReduceAlgorithmE0ElEvPT1_S3_j,comdat
.Lfunc_end67:
	.size	_Z19reduce_valid_kernelILj64ELN6hipcub20BlockReduceAlgorithmE0ElEvPT1_S3_j, .Lfunc_end67-_Z19reduce_valid_kernelILj64ELN6hipcub20BlockReduceAlgorithmE0ElEvPT1_S3_j
                                        ; -- End function
	.section	.AMDGPU.csdata,"",@progbits
; Kernel info:
; codeLenInByte = 716
; NumSgprs: 21
; NumVgprs: 19
; NumAgprs: 0
; TotalNumVgprs: 19
; ScratchSize: 0
; MemoryBound: 0
; FloatMode: 240
; IeeeMode: 1
; LDSByteSize: 0 bytes/workgroup (compile time only)
; SGPRBlocks: 2
; VGPRBlocks: 2
; NumSGPRsForWavesPerEU: 21
; NumVGPRsForWavesPerEU: 19
; AccumOffset: 20
; Occupancy: 8
; WaveLimiterHint : 0
; COMPUTE_PGM_RSRC2:SCRATCH_EN: 0
; COMPUTE_PGM_RSRC2:USER_SGPR: 6
; COMPUTE_PGM_RSRC2:TRAP_HANDLER: 0
; COMPUTE_PGM_RSRC2:TGID_X_EN: 1
; COMPUTE_PGM_RSRC2:TGID_Y_EN: 0
; COMPUTE_PGM_RSRC2:TGID_Z_EN: 0
; COMPUTE_PGM_RSRC2:TIDIG_COMP_CNT: 0
; COMPUTE_PGM_RSRC3_GFX90A:ACCUM_OFFSET: 4
; COMPUTE_PGM_RSRC3_GFX90A:TG_SPLIT: 0
	.section	.text._Z19reduce_valid_kernelILj377ELN6hipcub20BlockReduceAlgorithmE0EjEvPT1_S3_j,"axG",@progbits,_Z19reduce_valid_kernelILj377ELN6hipcub20BlockReduceAlgorithmE0EjEvPT1_S3_j,comdat
	.protected	_Z19reduce_valid_kernelILj377ELN6hipcub20BlockReduceAlgorithmE0EjEvPT1_S3_j ; -- Begin function _Z19reduce_valid_kernelILj377ELN6hipcub20BlockReduceAlgorithmE0EjEvPT1_S3_j
	.globl	_Z19reduce_valid_kernelILj377ELN6hipcub20BlockReduceAlgorithmE0EjEvPT1_S3_j
	.p2align	8
	.type	_Z19reduce_valid_kernelILj377ELN6hipcub20BlockReduceAlgorithmE0EjEvPT1_S3_j,@function
_Z19reduce_valid_kernelILj377ELN6hipcub20BlockReduceAlgorithmE0EjEvPT1_S3_j: ; @_Z19reduce_valid_kernelILj377ELN6hipcub20BlockReduceAlgorithmE0EjEvPT1_S3_j
; %bb.0:
	s_load_dwordx4 s[0:3], s[4:5], 0x0
	s_load_dword s7, s[4:5], 0x10
	s_mul_i32 s4, s6, 0x179
	v_add_u32_e32 v2, s4, v0
	v_mov_b32_e32 v3, 0
	v_lshlrev_b64 v[2:3], 2, v[2:3]
	s_waitcnt lgkmcnt(0)
	v_mov_b32_e32 v1, s1
	v_add_co_u32_e32 v2, vcc, s0, v2
	v_addc_co_u32_e32 v3, vcc, v1, v3, vcc
	global_load_dword v2, v[2:3], off
	v_mbcnt_lo_u32_b32 v1, -1, 0
	v_mbcnt_hi_u32_b32 v1, -1, v1
	v_and_b32_e32 v4, 63, v1
	v_cmp_ne_u32_e32 vcc, 63, v4
	v_addc_co_u32_e32 v10, vcc, 0, v1, vcc
	v_lshlrev_b32_e32 v10, 2, v10
	v_and_b32_e32 v3, 0x1c0, v0
	v_add_u32_e32 v5, 1, v1
	v_cmp_gt_u32_e32 vcc, 62, v4
	v_sub_u32_e64 v3, s7, v3 clamp
	v_cndmask_b32_e64 v11, 0, 1, vcc
	v_cmp_lt_u32_e32 vcc, v5, v3
	v_lshlrev_b32_e32 v11, 1, v11
	v_add_lshl_u32 v11, v11, v1, 2
	v_add_u32_e32 v6, 2, v1
	v_add_u32_e32 v7, 4, v1
	v_add_u32_e32 v8, 8, v1
	v_add_u32_e32 v9, 16, v1
	s_waitcnt vmcnt(0)
	ds_bpermute_b32 v10, v10, v2
	s_waitcnt lgkmcnt(0)
	v_cndmask_b32_e32 v5, 0, v10, vcc
	v_add_u32_e32 v2, v5, v2
	ds_bpermute_b32 v5, v11, v2
	v_cmp_gt_u32_e32 vcc, 60, v4
	v_cndmask_b32_e64 v10, 0, 1, vcc
	v_cmp_lt_u32_e32 vcc, v6, v3
	v_lshlrev_b32_e32 v10, 2, v10
	s_waitcnt lgkmcnt(0)
	v_cndmask_b32_e32 v5, 0, v5, vcc
	v_add_lshl_u32 v10, v10, v1, 2
	v_add_u32_e32 v2, v2, v5
	ds_bpermute_b32 v5, v10, v2
	v_cmp_gt_u32_e32 vcc, 56, v4
	v_cndmask_b32_e64 v6, 0, 1, vcc
	v_cmp_lt_u32_e32 vcc, v7, v3
	v_lshlrev_b32_e32 v6, 3, v6
	s_waitcnt lgkmcnt(0)
	v_cndmask_b32_e32 v5, 0, v5, vcc
	v_add_lshl_u32 v6, v6, v1, 2
	;; [unrolled: 9-line block ×4, first 2 shown]
	v_add_u32_e32 v2, v2, v5
	ds_bpermute_b32 v4, v4, v2
	v_add_u32_e32 v5, 32, v1
	v_cmp_lt_u32_e32 vcc, v5, v3
	s_waitcnt lgkmcnt(0)
	v_cndmask_b32_e32 v3, 0, v4, vcc
	v_add_u32_e32 v2, v2, v3
	v_cmp_eq_u32_e32 vcc, 0, v1
	s_and_saveexec_b64 s[0:1], vcc
	s_cbranch_execz .LBB68_2
; %bb.1:
	v_lshrrev_b32_e32 v3, 4, v0
	v_and_b32_e32 v3, 28, v3
	ds_write_b32 v3, v2
.LBB68_2:
	s_or_b64 exec, exec, s[0:1]
	v_cmp_gt_u32_e32 vcc, 6, v0
	s_waitcnt lgkmcnt(0)
	s_barrier
	s_and_saveexec_b64 s[0:1], vcc
	s_cbranch_execz .LBB68_4
; %bb.3:
	v_lshlrev_b32_e32 v2, 2, v1
	ds_read_b32 v2, v2
	v_and_b32_e32 v3, 7, v1
	v_cmp_ne_u32_e32 vcc, 7, v3
	v_addc_co_u32_e32 v4, vcc, 0, v1, vcc
	v_lshlrev_b32_e32 v4, 2, v4
	s_waitcnt lgkmcnt(0)
	ds_bpermute_b32 v4, v4, v2
	s_add_i32 s7, s7, 63
	s_lshr_b32 s4, s7, 6
	v_add_u32_e32 v5, 1, v3
	v_cmp_gt_u32_e32 vcc, s4, v5
	s_waitcnt lgkmcnt(0)
	v_cndmask_b32_e32 v4, 0, v4, vcc
	v_cmp_gt_u32_e32 vcc, 6, v3
	v_add_u32_e32 v2, v4, v2
	v_cndmask_b32_e64 v4, 0, 1, vcc
	v_lshlrev_b32_e32 v4, 1, v4
	v_add_lshl_u32 v4, v4, v1, 2
	ds_bpermute_b32 v4, v4, v2
	v_add_u32_e32 v5, 2, v3
	v_cmp_gt_u32_e32 vcc, s4, v5
	s_waitcnt lgkmcnt(0)
	v_cndmask_b32_e32 v4, 0, v4, vcc
	v_cmp_gt_u32_e32 vcc, 4, v3
	v_add_u32_e32 v2, v2, v4
	v_cndmask_b32_e64 v4, 0, 1, vcc
	v_lshlrev_b32_e32 v4, 2, v4
	v_add_lshl_u32 v1, v4, v1, 2
	ds_bpermute_b32 v1, v1, v2
	v_add_u32_e32 v3, 4, v3
	v_cmp_gt_u32_e32 vcc, s4, v3
	s_waitcnt lgkmcnt(0)
	v_cndmask_b32_e32 v1, 0, v1, vcc
	v_add_u32_e32 v2, v2, v1
.LBB68_4:
	s_or_b64 exec, exec, s[0:1]
	s_mov_b32 s7, 0
	v_cmp_eq_u32_e32 vcc, 0, v0
	s_and_saveexec_b64 s[0:1], vcc
	s_cbranch_execz .LBB68_6
; %bb.5:
	s_lshl_b64 s[0:1], s[6:7], 2
	s_add_u32 s0, s2, s0
	s_addc_u32 s1, s3, s1
	v_mov_b32_e32 v0, 0
	global_store_dword v0, v2, s[0:1]
.LBB68_6:
	s_endpgm
	.section	.rodata,"a",@progbits
	.p2align	6, 0x0
	.amdhsa_kernel _Z19reduce_valid_kernelILj377ELN6hipcub20BlockReduceAlgorithmE0EjEvPT1_S3_j
		.amdhsa_group_segment_fixed_size 24
		.amdhsa_private_segment_fixed_size 0
		.amdhsa_kernarg_size 20
		.amdhsa_user_sgpr_count 6
		.amdhsa_user_sgpr_private_segment_buffer 1
		.amdhsa_user_sgpr_dispatch_ptr 0
		.amdhsa_user_sgpr_queue_ptr 0
		.amdhsa_user_sgpr_kernarg_segment_ptr 1
		.amdhsa_user_sgpr_dispatch_id 0
		.amdhsa_user_sgpr_flat_scratch_init 0
		.amdhsa_user_sgpr_kernarg_preload_length 0
		.amdhsa_user_sgpr_kernarg_preload_offset 0
		.amdhsa_user_sgpr_private_segment_size 0
		.amdhsa_uses_dynamic_stack 0
		.amdhsa_system_sgpr_private_segment_wavefront_offset 0
		.amdhsa_system_sgpr_workgroup_id_x 1
		.amdhsa_system_sgpr_workgroup_id_y 0
		.amdhsa_system_sgpr_workgroup_id_z 0
		.amdhsa_system_sgpr_workgroup_info 0
		.amdhsa_system_vgpr_workitem_id 0
		.amdhsa_next_free_vgpr 12
		.amdhsa_next_free_sgpr 8
		.amdhsa_accum_offset 12
		.amdhsa_reserve_vcc 1
		.amdhsa_reserve_flat_scratch 0
		.amdhsa_float_round_mode_32 0
		.amdhsa_float_round_mode_16_64 0
		.amdhsa_float_denorm_mode_32 3
		.amdhsa_float_denorm_mode_16_64 3
		.amdhsa_dx10_clamp 1
		.amdhsa_ieee_mode 1
		.amdhsa_fp16_overflow 0
		.amdhsa_tg_split 0
		.amdhsa_exception_fp_ieee_invalid_op 0
		.amdhsa_exception_fp_denorm_src 0
		.amdhsa_exception_fp_ieee_div_zero 0
		.amdhsa_exception_fp_ieee_overflow 0
		.amdhsa_exception_fp_ieee_underflow 0
		.amdhsa_exception_fp_ieee_inexact 0
		.amdhsa_exception_int_div_zero 0
	.end_amdhsa_kernel
	.section	.text._Z19reduce_valid_kernelILj377ELN6hipcub20BlockReduceAlgorithmE0EjEvPT1_S3_j,"axG",@progbits,_Z19reduce_valid_kernelILj377ELN6hipcub20BlockReduceAlgorithmE0EjEvPT1_S3_j,comdat
.Lfunc_end68:
	.size	_Z19reduce_valid_kernelILj377ELN6hipcub20BlockReduceAlgorithmE0EjEvPT1_S3_j, .Lfunc_end68-_Z19reduce_valid_kernelILj377ELN6hipcub20BlockReduceAlgorithmE0EjEvPT1_S3_j
                                        ; -- End function
	.section	.AMDGPU.csdata,"",@progbits
; Kernel info:
; codeLenInByte = 676
; NumSgprs: 12
; NumVgprs: 12
; NumAgprs: 0
; TotalNumVgprs: 12
; ScratchSize: 0
; MemoryBound: 0
; FloatMode: 240
; IeeeMode: 1
; LDSByteSize: 24 bytes/workgroup (compile time only)
; SGPRBlocks: 1
; VGPRBlocks: 1
; NumSGPRsForWavesPerEU: 12
; NumVGPRsForWavesPerEU: 12
; AccumOffset: 12
; Occupancy: 8
; WaveLimiterHint : 0
; COMPUTE_PGM_RSRC2:SCRATCH_EN: 0
; COMPUTE_PGM_RSRC2:USER_SGPR: 6
; COMPUTE_PGM_RSRC2:TRAP_HANDLER: 0
; COMPUTE_PGM_RSRC2:TGID_X_EN: 1
; COMPUTE_PGM_RSRC2:TGID_Y_EN: 0
; COMPUTE_PGM_RSRC2:TGID_Z_EN: 0
; COMPUTE_PGM_RSRC2:TIDIG_COMP_CNT: 0
; COMPUTE_PGM_RSRC3_GFX90A:ACCUM_OFFSET: 2
; COMPUTE_PGM_RSRC3_GFX90A:TG_SPLIT: 0
	.section	.text._Z19reduce_valid_kernelILj256ELN6hipcub20BlockReduceAlgorithmE0EjEvPT1_S3_j,"axG",@progbits,_Z19reduce_valid_kernelILj256ELN6hipcub20BlockReduceAlgorithmE0EjEvPT1_S3_j,comdat
	.protected	_Z19reduce_valid_kernelILj256ELN6hipcub20BlockReduceAlgorithmE0EjEvPT1_S3_j ; -- Begin function _Z19reduce_valid_kernelILj256ELN6hipcub20BlockReduceAlgorithmE0EjEvPT1_S3_j
	.globl	_Z19reduce_valid_kernelILj256ELN6hipcub20BlockReduceAlgorithmE0EjEvPT1_S3_j
	.p2align	8
	.type	_Z19reduce_valid_kernelILj256ELN6hipcub20BlockReduceAlgorithmE0EjEvPT1_S3_j,@function
_Z19reduce_valid_kernelILj256ELN6hipcub20BlockReduceAlgorithmE0EjEvPT1_S3_j: ; @_Z19reduce_valid_kernelILj256ELN6hipcub20BlockReduceAlgorithmE0EjEvPT1_S3_j
; %bb.0:
	s_load_dwordx4 s[0:3], s[4:5], 0x0
	s_load_dword s7, s[4:5], 0x10
	v_lshl_or_b32 v2, s6, 8, v0
	v_mov_b32_e32 v3, 0
	v_lshlrev_b64 v[2:3], 2, v[2:3]
	s_waitcnt lgkmcnt(0)
	v_mov_b32_e32 v1, s1
	v_add_co_u32_e32 v2, vcc, s0, v2
	v_addc_co_u32_e32 v3, vcc, v1, v3, vcc
	global_load_dword v2, v[2:3], off
	v_mbcnt_lo_u32_b32 v1, -1, 0
	v_mbcnt_hi_u32_b32 v1, -1, v1
	v_and_b32_e32 v4, 63, v1
	v_cmp_ne_u32_e32 vcc, 63, v4
	v_addc_co_u32_e32 v10, vcc, 0, v1, vcc
	v_lshlrev_b32_e32 v10, 2, v10
	v_and_b32_e32 v3, 0xc0, v0
	v_add_u32_e32 v5, 1, v1
	v_cmp_gt_u32_e32 vcc, 62, v4
	v_sub_u32_e64 v3, s7, v3 clamp
	v_cndmask_b32_e64 v11, 0, 1, vcc
	v_cmp_lt_u32_e32 vcc, v5, v3
	v_lshlrev_b32_e32 v11, 1, v11
	v_add_lshl_u32 v11, v11, v1, 2
	v_add_u32_e32 v6, 2, v1
	v_add_u32_e32 v7, 4, v1
	;; [unrolled: 1-line block ×4, first 2 shown]
	s_waitcnt vmcnt(0)
	ds_bpermute_b32 v10, v10, v2
	s_waitcnt lgkmcnt(0)
	v_cndmask_b32_e32 v5, 0, v10, vcc
	v_add_u32_e32 v2, v5, v2
	ds_bpermute_b32 v5, v11, v2
	v_cmp_gt_u32_e32 vcc, 60, v4
	v_cndmask_b32_e64 v10, 0, 1, vcc
	v_cmp_lt_u32_e32 vcc, v6, v3
	v_lshlrev_b32_e32 v10, 2, v10
	s_waitcnt lgkmcnt(0)
	v_cndmask_b32_e32 v5, 0, v5, vcc
	v_add_lshl_u32 v10, v10, v1, 2
	v_add_u32_e32 v2, v2, v5
	ds_bpermute_b32 v5, v10, v2
	v_cmp_gt_u32_e32 vcc, 56, v4
	v_cndmask_b32_e64 v6, 0, 1, vcc
	v_cmp_lt_u32_e32 vcc, v7, v3
	v_lshlrev_b32_e32 v6, 3, v6
	s_waitcnt lgkmcnt(0)
	v_cndmask_b32_e32 v5, 0, v5, vcc
	v_add_lshl_u32 v6, v6, v1, 2
	v_add_u32_e32 v2, v2, v5
	ds_bpermute_b32 v5, v6, v2
	v_cmp_gt_u32_e32 vcc, 48, v4
	v_cndmask_b32_e64 v6, 0, 1, vcc
	v_cmp_lt_u32_e32 vcc, v8, v3
	v_lshlrev_b32_e32 v6, 4, v6
	s_waitcnt lgkmcnt(0)
	v_cndmask_b32_e32 v5, 0, v5, vcc
	v_add_lshl_u32 v6, v6, v1, 2
	v_add_u32_e32 v2, v2, v5
	ds_bpermute_b32 v5, v6, v2
	v_cmp_gt_u32_e32 vcc, 32, v4
	v_cndmask_b32_e64 v4, 0, 1, vcc
	v_cmp_lt_u32_e32 vcc, v9, v3
	v_lshlrev_b32_e32 v4, 5, v4
	s_waitcnt lgkmcnt(0)
	v_cndmask_b32_e32 v5, 0, v5, vcc
	v_add_lshl_u32 v4, v4, v1, 2
	v_add_u32_e32 v2, v2, v5
	ds_bpermute_b32 v4, v4, v2
	v_add_u32_e32 v5, 32, v1
	v_cmp_lt_u32_e32 vcc, v5, v3
	s_waitcnt lgkmcnt(0)
	v_cndmask_b32_e32 v3, 0, v4, vcc
	v_add_u32_e32 v2, v2, v3
	v_cmp_eq_u32_e32 vcc, 0, v1
	s_and_saveexec_b64 s[0:1], vcc
	s_cbranch_execz .LBB69_2
; %bb.1:
	v_lshrrev_b32_e32 v3, 4, v0
	v_and_b32_e32 v3, 12, v3
	ds_write_b32 v3, v2
.LBB69_2:
	s_or_b64 exec, exec, s[0:1]
	v_cmp_gt_u32_e32 vcc, 4, v0
	s_waitcnt lgkmcnt(0)
	s_barrier
	s_and_saveexec_b64 s[0:1], vcc
	s_cbranch_execz .LBB69_4
; %bb.3:
	v_lshlrev_b32_e32 v2, 2, v1
	ds_read_b32 v2, v2
	v_and_b32_e32 v3, 3, v1
	v_cmp_ne_u32_e32 vcc, 3, v3
	v_addc_co_u32_e32 v4, vcc, 0, v1, vcc
	v_lshlrev_b32_e32 v4, 2, v4
	s_waitcnt lgkmcnt(0)
	ds_bpermute_b32 v4, v4, v2
	s_add_i32 s7, s7, 63
	s_lshr_b32 s4, s7, 6
	v_add_u32_e32 v5, 1, v3
	v_cmp_gt_u32_e32 vcc, s4, v5
	s_waitcnt lgkmcnt(0)
	v_cndmask_b32_e32 v4, 0, v4, vcc
	v_cmp_gt_u32_e32 vcc, 2, v3
	v_add_u32_e32 v2, v4, v2
	v_cndmask_b32_e64 v4, 0, 1, vcc
	v_lshlrev_b32_e32 v4, 1, v4
	v_add_lshl_u32 v1, v4, v1, 2
	ds_bpermute_b32 v1, v1, v2
	v_add_u32_e32 v3, 2, v3
	v_cmp_gt_u32_e32 vcc, s4, v3
	s_waitcnt lgkmcnt(0)
	v_cndmask_b32_e32 v1, 0, v1, vcc
	v_add_u32_e32 v2, v2, v1
.LBB69_4:
	s_or_b64 exec, exec, s[0:1]
	s_mov_b32 s7, 0
	v_cmp_eq_u32_e32 vcc, 0, v0
	s_and_saveexec_b64 s[0:1], vcc
	s_cbranch_execz .LBB69_6
; %bb.5:
	s_lshl_b64 s[0:1], s[6:7], 2
	s_add_u32 s0, s2, s0
	s_addc_u32 s1, s3, s1
	v_mov_b32_e32 v0, 0
	global_store_dword v0, v2, s[0:1]
.LBB69_6:
	s_endpgm
	.section	.rodata,"a",@progbits
	.p2align	6, 0x0
	.amdhsa_kernel _Z19reduce_valid_kernelILj256ELN6hipcub20BlockReduceAlgorithmE0EjEvPT1_S3_j
		.amdhsa_group_segment_fixed_size 16
		.amdhsa_private_segment_fixed_size 0
		.amdhsa_kernarg_size 20
		.amdhsa_user_sgpr_count 6
		.amdhsa_user_sgpr_private_segment_buffer 1
		.amdhsa_user_sgpr_dispatch_ptr 0
		.amdhsa_user_sgpr_queue_ptr 0
		.amdhsa_user_sgpr_kernarg_segment_ptr 1
		.amdhsa_user_sgpr_dispatch_id 0
		.amdhsa_user_sgpr_flat_scratch_init 0
		.amdhsa_user_sgpr_kernarg_preload_length 0
		.amdhsa_user_sgpr_kernarg_preload_offset 0
		.amdhsa_user_sgpr_private_segment_size 0
		.amdhsa_uses_dynamic_stack 0
		.amdhsa_system_sgpr_private_segment_wavefront_offset 0
		.amdhsa_system_sgpr_workgroup_id_x 1
		.amdhsa_system_sgpr_workgroup_id_y 0
		.amdhsa_system_sgpr_workgroup_id_z 0
		.amdhsa_system_sgpr_workgroup_info 0
		.amdhsa_system_vgpr_workitem_id 0
		.amdhsa_next_free_vgpr 12
		.amdhsa_next_free_sgpr 8
		.amdhsa_accum_offset 12
		.amdhsa_reserve_vcc 1
		.amdhsa_reserve_flat_scratch 0
		.amdhsa_float_round_mode_32 0
		.amdhsa_float_round_mode_16_64 0
		.amdhsa_float_denorm_mode_32 3
		.amdhsa_float_denorm_mode_16_64 3
		.amdhsa_dx10_clamp 1
		.amdhsa_ieee_mode 1
		.amdhsa_fp16_overflow 0
		.amdhsa_tg_split 0
		.amdhsa_exception_fp_ieee_invalid_op 0
		.amdhsa_exception_fp_denorm_src 0
		.amdhsa_exception_fp_ieee_div_zero 0
		.amdhsa_exception_fp_ieee_overflow 0
		.amdhsa_exception_fp_ieee_underflow 0
		.amdhsa_exception_fp_ieee_inexact 0
		.amdhsa_exception_int_div_zero 0
	.end_amdhsa_kernel
	.section	.text._Z19reduce_valid_kernelILj256ELN6hipcub20BlockReduceAlgorithmE0EjEvPT1_S3_j,"axG",@progbits,_Z19reduce_valid_kernelILj256ELN6hipcub20BlockReduceAlgorithmE0EjEvPT1_S3_j,comdat
.Lfunc_end69:
	.size	_Z19reduce_valid_kernelILj256ELN6hipcub20BlockReduceAlgorithmE0EjEvPT1_S3_j, .Lfunc_end69-_Z19reduce_valid_kernelILj256ELN6hipcub20BlockReduceAlgorithmE0EjEvPT1_S3_j
                                        ; -- End function
	.section	.AMDGPU.csdata,"",@progbits
; Kernel info:
; codeLenInByte = 620
; NumSgprs: 12
; NumVgprs: 12
; NumAgprs: 0
; TotalNumVgprs: 12
; ScratchSize: 0
; MemoryBound: 0
; FloatMode: 240
; IeeeMode: 1
; LDSByteSize: 16 bytes/workgroup (compile time only)
; SGPRBlocks: 1
; VGPRBlocks: 1
; NumSGPRsForWavesPerEU: 12
; NumVGPRsForWavesPerEU: 12
; AccumOffset: 12
; Occupancy: 8
; WaveLimiterHint : 0
; COMPUTE_PGM_RSRC2:SCRATCH_EN: 0
; COMPUTE_PGM_RSRC2:USER_SGPR: 6
; COMPUTE_PGM_RSRC2:TRAP_HANDLER: 0
; COMPUTE_PGM_RSRC2:TGID_X_EN: 1
; COMPUTE_PGM_RSRC2:TGID_Y_EN: 0
; COMPUTE_PGM_RSRC2:TGID_Z_EN: 0
; COMPUTE_PGM_RSRC2:TIDIG_COMP_CNT: 0
; COMPUTE_PGM_RSRC3_GFX90A:ACCUM_OFFSET: 2
; COMPUTE_PGM_RSRC3_GFX90A:TG_SPLIT: 0
	.section	.text._Z19reduce_valid_kernelILj64ELN6hipcub20BlockReduceAlgorithmE0EjEvPT1_S3_j,"axG",@progbits,_Z19reduce_valid_kernelILj64ELN6hipcub20BlockReduceAlgorithmE0EjEvPT1_S3_j,comdat
	.protected	_Z19reduce_valid_kernelILj64ELN6hipcub20BlockReduceAlgorithmE0EjEvPT1_S3_j ; -- Begin function _Z19reduce_valid_kernelILj64ELN6hipcub20BlockReduceAlgorithmE0EjEvPT1_S3_j
	.globl	_Z19reduce_valid_kernelILj64ELN6hipcub20BlockReduceAlgorithmE0EjEvPT1_S3_j
	.p2align	8
	.type	_Z19reduce_valid_kernelILj64ELN6hipcub20BlockReduceAlgorithmE0EjEvPT1_S3_j,@function
_Z19reduce_valid_kernelILj64ELN6hipcub20BlockReduceAlgorithmE0EjEvPT1_S3_j: ; @_Z19reduce_valid_kernelILj64ELN6hipcub20BlockReduceAlgorithmE0EjEvPT1_S3_j
; %bb.0:
	s_load_dwordx4 s[0:3], s[4:5], 0x0
	s_load_dword s8, s[4:5], 0x10
	v_lshl_or_b32 v2, s6, 6, v0
	v_mov_b32_e32 v3, 0
	v_lshlrev_b64 v[4:5], 2, v[2:3]
	s_waitcnt lgkmcnt(0)
	v_mov_b32_e32 v1, s1
	v_add_co_u32_e32 v4, vcc, s0, v4
	v_addc_co_u32_e32 v5, vcc, v1, v5, vcc
	global_load_dword v2, v[4:5], off
	v_mbcnt_lo_u32_b32 v1, -1, 0
	v_mbcnt_hi_u32_b32 v1, -1, v1
	v_and_b32_e32 v4, 63, v1
	v_cmp_ne_u32_e32 vcc, 63, v4
	v_addc_co_u32_e32 v10, vcc, 0, v1, vcc
	v_lshlrev_b32_e32 v10, 2, v10
	v_add_u32_e32 v5, 1, v1
	v_cmp_gt_u32_e32 vcc, 62, v4
	v_cndmask_b32_e64 v11, 0, 1, vcc
	v_cmp_gt_u32_e32 vcc, s8, v5
	v_lshlrev_b32_e32 v11, 1, v11
	v_add_lshl_u32 v11, v11, v1, 2
	v_add_u32_e32 v6, 2, v1
	v_add_u32_e32 v7, 4, v1
	;; [unrolled: 1-line block ×4, first 2 shown]
	s_mov_b32 s7, 0
	s_waitcnt vmcnt(0)
	ds_bpermute_b32 v10, v10, v2
	s_waitcnt lgkmcnt(0)
	v_cndmask_b32_e32 v5, 0, v10, vcc
	v_add_u32_e32 v2, v5, v2
	ds_bpermute_b32 v5, v11, v2
	v_cmp_gt_u32_e32 vcc, 60, v4
	v_cndmask_b32_e64 v10, 0, 1, vcc
	v_cmp_gt_u32_e32 vcc, s8, v6
	v_lshlrev_b32_e32 v10, 2, v10
	s_waitcnt lgkmcnt(0)
	v_cndmask_b32_e32 v5, 0, v5, vcc
	v_add_lshl_u32 v10, v10, v1, 2
	v_add_u32_e32 v2, v2, v5
	ds_bpermute_b32 v5, v10, v2
	v_cmp_gt_u32_e32 vcc, 56, v4
	v_cndmask_b32_e64 v6, 0, 1, vcc
	v_cmp_gt_u32_e32 vcc, s8, v7
	v_lshlrev_b32_e32 v6, 3, v6
	s_waitcnt lgkmcnt(0)
	v_cndmask_b32_e32 v5, 0, v5, vcc
	v_add_lshl_u32 v6, v6, v1, 2
	;; [unrolled: 9-line block ×3, first 2 shown]
	v_add_u32_e32 v2, v2, v5
	ds_bpermute_b32 v5, v6, v2
	v_cmp_gt_u32_e32 vcc, 32, v4
	v_cndmask_b32_e64 v4, 0, 1, vcc
	v_cmp_gt_u32_e32 vcc, s8, v9
	v_lshlrev_b32_e32 v4, 5, v4
	s_waitcnt lgkmcnt(0)
	v_cndmask_b32_e32 v5, 0, v5, vcc
	v_add_u32_e32 v2, v2, v5
	v_add_lshl_u32 v4, v4, v1, 2
	ds_bpermute_b32 v4, v4, v2
	v_cmp_eq_u32_e32 vcc, 0, v0
	s_and_saveexec_b64 s[0:1], vcc
	s_cbranch_execz .LBB70_2
; %bb.1:
	v_add_u32_e32 v0, 32, v1
	s_lshl_b64 s[0:1], s[6:7], 2
	v_cmp_gt_u32_e32 vcc, s8, v0
	s_add_u32 s0, s2, s0
	s_waitcnt lgkmcnt(0)
	v_cndmask_b32_e32 v0, 0, v4, vcc
	s_addc_u32 s1, s3, s1
	v_add_u32_e32 v0, v2, v0
	global_store_dword v3, v0, s[0:1]
.LBB70_2:
	s_endpgm
	.section	.rodata,"a",@progbits
	.p2align	6, 0x0
	.amdhsa_kernel _Z19reduce_valid_kernelILj64ELN6hipcub20BlockReduceAlgorithmE0EjEvPT1_S3_j
		.amdhsa_group_segment_fixed_size 0
		.amdhsa_private_segment_fixed_size 0
		.amdhsa_kernarg_size 20
		.amdhsa_user_sgpr_count 6
		.amdhsa_user_sgpr_private_segment_buffer 1
		.amdhsa_user_sgpr_dispatch_ptr 0
		.amdhsa_user_sgpr_queue_ptr 0
		.amdhsa_user_sgpr_kernarg_segment_ptr 1
		.amdhsa_user_sgpr_dispatch_id 0
		.amdhsa_user_sgpr_flat_scratch_init 0
		.amdhsa_user_sgpr_kernarg_preload_length 0
		.amdhsa_user_sgpr_kernarg_preload_offset 0
		.amdhsa_user_sgpr_private_segment_size 0
		.amdhsa_uses_dynamic_stack 0
		.amdhsa_system_sgpr_private_segment_wavefront_offset 0
		.amdhsa_system_sgpr_workgroup_id_x 1
		.amdhsa_system_sgpr_workgroup_id_y 0
		.amdhsa_system_sgpr_workgroup_id_z 0
		.amdhsa_system_sgpr_workgroup_info 0
		.amdhsa_system_vgpr_workitem_id 0
		.amdhsa_next_free_vgpr 12
		.amdhsa_next_free_sgpr 9
		.amdhsa_accum_offset 12
		.amdhsa_reserve_vcc 1
		.amdhsa_reserve_flat_scratch 0
		.amdhsa_float_round_mode_32 0
		.amdhsa_float_round_mode_16_64 0
		.amdhsa_float_denorm_mode_32 3
		.amdhsa_float_denorm_mode_16_64 3
		.amdhsa_dx10_clamp 1
		.amdhsa_ieee_mode 1
		.amdhsa_fp16_overflow 0
		.amdhsa_tg_split 0
		.amdhsa_exception_fp_ieee_invalid_op 0
		.amdhsa_exception_fp_denorm_src 0
		.amdhsa_exception_fp_ieee_div_zero 0
		.amdhsa_exception_fp_ieee_overflow 0
		.amdhsa_exception_fp_ieee_underflow 0
		.amdhsa_exception_fp_ieee_inexact 0
		.amdhsa_exception_int_div_zero 0
	.end_amdhsa_kernel
	.section	.text._Z19reduce_valid_kernelILj64ELN6hipcub20BlockReduceAlgorithmE0EjEvPT1_S3_j,"axG",@progbits,_Z19reduce_valid_kernelILj64ELN6hipcub20BlockReduceAlgorithmE0EjEvPT1_S3_j,comdat
.Lfunc_end70:
	.size	_Z19reduce_valid_kernelILj64ELN6hipcub20BlockReduceAlgorithmE0EjEvPT1_S3_j, .Lfunc_end70-_Z19reduce_valid_kernelILj64ELN6hipcub20BlockReduceAlgorithmE0EjEvPT1_S3_j
                                        ; -- End function
	.section	.AMDGPU.csdata,"",@progbits
; Kernel info:
; codeLenInByte = 424
; NumSgprs: 13
; NumVgprs: 12
; NumAgprs: 0
; TotalNumVgprs: 12
; ScratchSize: 0
; MemoryBound: 0
; FloatMode: 240
; IeeeMode: 1
; LDSByteSize: 0 bytes/workgroup (compile time only)
; SGPRBlocks: 1
; VGPRBlocks: 1
; NumSGPRsForWavesPerEU: 13
; NumVGPRsForWavesPerEU: 12
; AccumOffset: 12
; Occupancy: 8
; WaveLimiterHint : 0
; COMPUTE_PGM_RSRC2:SCRATCH_EN: 0
; COMPUTE_PGM_RSRC2:USER_SGPR: 6
; COMPUTE_PGM_RSRC2:TRAP_HANDLER: 0
; COMPUTE_PGM_RSRC2:TGID_X_EN: 1
; COMPUTE_PGM_RSRC2:TGID_Y_EN: 0
; COMPUTE_PGM_RSRC2:TGID_Z_EN: 0
; COMPUTE_PGM_RSRC2:TIDIG_COMP_CNT: 0
; COMPUTE_PGM_RSRC3_GFX90A:ACCUM_OFFSET: 2
; COMPUTE_PGM_RSRC3_GFX90A:TG_SPLIT: 0
	.section	.text._Z19reduce_valid_kernelILj255ELN6hipcub20BlockReduceAlgorithmE0EiEvPT1_S3_j,"axG",@progbits,_Z19reduce_valid_kernelILj255ELN6hipcub20BlockReduceAlgorithmE0EiEvPT1_S3_j,comdat
	.protected	_Z19reduce_valid_kernelILj255ELN6hipcub20BlockReduceAlgorithmE0EiEvPT1_S3_j ; -- Begin function _Z19reduce_valid_kernelILj255ELN6hipcub20BlockReduceAlgorithmE0EiEvPT1_S3_j
	.globl	_Z19reduce_valid_kernelILj255ELN6hipcub20BlockReduceAlgorithmE0EiEvPT1_S3_j
	.p2align	8
	.type	_Z19reduce_valid_kernelILj255ELN6hipcub20BlockReduceAlgorithmE0EiEvPT1_S3_j,@function
_Z19reduce_valid_kernelILj255ELN6hipcub20BlockReduceAlgorithmE0EiEvPT1_S3_j: ; @_Z19reduce_valid_kernelILj255ELN6hipcub20BlockReduceAlgorithmE0EiEvPT1_S3_j
; %bb.0:
	s_load_dwordx4 s[0:3], s[4:5], 0x0
	s_load_dword s7, s[4:5], 0x10
	s_mul_i32 s4, s6, 0xff
	v_add_u32_e32 v2, s4, v0
	v_mov_b32_e32 v3, 0
	v_lshlrev_b64 v[2:3], 2, v[2:3]
	s_waitcnt lgkmcnt(0)
	v_mov_b32_e32 v1, s1
	v_add_co_u32_e32 v2, vcc, s0, v2
	v_addc_co_u32_e32 v3, vcc, v1, v3, vcc
	global_load_dword v2, v[2:3], off
	v_mbcnt_lo_u32_b32 v1, -1, 0
	v_mbcnt_hi_u32_b32 v1, -1, v1
	v_and_b32_e32 v4, 63, v1
	v_cmp_ne_u32_e32 vcc, 63, v4
	v_addc_co_u32_e32 v10, vcc, 0, v1, vcc
	v_lshlrev_b32_e32 v10, 2, v10
	v_and_b32_e32 v3, 0xc0, v0
	v_add_u32_e32 v5, 1, v1
	v_cmp_gt_u32_e32 vcc, 62, v4
	v_sub_u32_e64 v3, s7, v3 clamp
	v_cndmask_b32_e64 v11, 0, 1, vcc
	v_cmp_lt_u32_e32 vcc, v5, v3
	v_lshlrev_b32_e32 v11, 1, v11
	v_add_lshl_u32 v11, v11, v1, 2
	v_add_u32_e32 v6, 2, v1
	v_add_u32_e32 v7, 4, v1
	;; [unrolled: 1-line block ×4, first 2 shown]
	s_waitcnt vmcnt(0)
	ds_bpermute_b32 v10, v10, v2
	s_waitcnt lgkmcnt(0)
	v_cndmask_b32_e32 v5, 0, v10, vcc
	v_add_u32_e32 v2, v5, v2
	ds_bpermute_b32 v5, v11, v2
	v_cmp_gt_u32_e32 vcc, 60, v4
	v_cndmask_b32_e64 v10, 0, 1, vcc
	v_cmp_lt_u32_e32 vcc, v6, v3
	v_lshlrev_b32_e32 v10, 2, v10
	s_waitcnt lgkmcnt(0)
	v_cndmask_b32_e32 v5, 0, v5, vcc
	v_add_lshl_u32 v10, v10, v1, 2
	v_add_u32_e32 v2, v2, v5
	ds_bpermute_b32 v5, v10, v2
	v_cmp_gt_u32_e32 vcc, 56, v4
	v_cndmask_b32_e64 v6, 0, 1, vcc
	v_cmp_lt_u32_e32 vcc, v7, v3
	v_lshlrev_b32_e32 v6, 3, v6
	s_waitcnt lgkmcnt(0)
	v_cndmask_b32_e32 v5, 0, v5, vcc
	v_add_lshl_u32 v6, v6, v1, 2
	;; [unrolled: 9-line block ×4, first 2 shown]
	v_add_u32_e32 v2, v2, v5
	ds_bpermute_b32 v4, v4, v2
	v_add_u32_e32 v5, 32, v1
	v_cmp_lt_u32_e32 vcc, v5, v3
	s_waitcnt lgkmcnt(0)
	v_cndmask_b32_e32 v3, 0, v4, vcc
	v_add_u32_e32 v2, v2, v3
	v_cmp_eq_u32_e32 vcc, 0, v1
	s_and_saveexec_b64 s[0:1], vcc
	s_cbranch_execz .LBB71_2
; %bb.1:
	v_lshrrev_b32_e32 v3, 4, v0
	v_and_b32_e32 v3, 12, v3
	ds_write_b32 v3, v2
.LBB71_2:
	s_or_b64 exec, exec, s[0:1]
	v_cmp_gt_u32_e32 vcc, 4, v0
	s_waitcnt lgkmcnt(0)
	s_barrier
	s_and_saveexec_b64 s[0:1], vcc
	s_cbranch_execz .LBB71_4
; %bb.3:
	v_lshlrev_b32_e32 v2, 2, v1
	ds_read_b32 v2, v2
	v_and_b32_e32 v3, 3, v1
	v_cmp_ne_u32_e32 vcc, 3, v3
	v_addc_co_u32_e32 v4, vcc, 0, v1, vcc
	v_lshlrev_b32_e32 v4, 2, v4
	s_waitcnt lgkmcnt(0)
	ds_bpermute_b32 v4, v4, v2
	s_add_i32 s7, s7, 63
	s_lshr_b32 s4, s7, 6
	v_add_u32_e32 v5, 1, v3
	v_cmp_gt_u32_e32 vcc, s4, v5
	s_waitcnt lgkmcnt(0)
	v_cndmask_b32_e32 v4, 0, v4, vcc
	v_cmp_gt_u32_e32 vcc, 2, v3
	v_add_u32_e32 v2, v4, v2
	v_cndmask_b32_e64 v4, 0, 1, vcc
	v_lshlrev_b32_e32 v4, 1, v4
	v_add_lshl_u32 v1, v4, v1, 2
	ds_bpermute_b32 v1, v1, v2
	v_add_u32_e32 v3, 2, v3
	v_cmp_gt_u32_e32 vcc, s4, v3
	s_waitcnt lgkmcnt(0)
	v_cndmask_b32_e32 v1, 0, v1, vcc
	v_add_u32_e32 v2, v2, v1
.LBB71_4:
	s_or_b64 exec, exec, s[0:1]
	s_mov_b32 s7, 0
	v_cmp_eq_u32_e32 vcc, 0, v0
	s_and_saveexec_b64 s[0:1], vcc
	s_cbranch_execz .LBB71_6
; %bb.5:
	s_lshl_b64 s[0:1], s[6:7], 2
	s_add_u32 s0, s2, s0
	s_addc_u32 s1, s3, s1
	v_mov_b32_e32 v0, 0
	global_store_dword v0, v2, s[0:1]
.LBB71_6:
	s_endpgm
	.section	.rodata,"a",@progbits
	.p2align	6, 0x0
	.amdhsa_kernel _Z19reduce_valid_kernelILj255ELN6hipcub20BlockReduceAlgorithmE0EiEvPT1_S3_j
		.amdhsa_group_segment_fixed_size 16
		.amdhsa_private_segment_fixed_size 0
		.amdhsa_kernarg_size 20
		.amdhsa_user_sgpr_count 6
		.amdhsa_user_sgpr_private_segment_buffer 1
		.amdhsa_user_sgpr_dispatch_ptr 0
		.amdhsa_user_sgpr_queue_ptr 0
		.amdhsa_user_sgpr_kernarg_segment_ptr 1
		.amdhsa_user_sgpr_dispatch_id 0
		.amdhsa_user_sgpr_flat_scratch_init 0
		.amdhsa_user_sgpr_kernarg_preload_length 0
		.amdhsa_user_sgpr_kernarg_preload_offset 0
		.amdhsa_user_sgpr_private_segment_size 0
		.amdhsa_uses_dynamic_stack 0
		.amdhsa_system_sgpr_private_segment_wavefront_offset 0
		.amdhsa_system_sgpr_workgroup_id_x 1
		.amdhsa_system_sgpr_workgroup_id_y 0
		.amdhsa_system_sgpr_workgroup_id_z 0
		.amdhsa_system_sgpr_workgroup_info 0
		.amdhsa_system_vgpr_workitem_id 0
		.amdhsa_next_free_vgpr 12
		.amdhsa_next_free_sgpr 8
		.amdhsa_accum_offset 12
		.amdhsa_reserve_vcc 1
		.amdhsa_reserve_flat_scratch 0
		.amdhsa_float_round_mode_32 0
		.amdhsa_float_round_mode_16_64 0
		.amdhsa_float_denorm_mode_32 3
		.amdhsa_float_denorm_mode_16_64 3
		.amdhsa_dx10_clamp 1
		.amdhsa_ieee_mode 1
		.amdhsa_fp16_overflow 0
		.amdhsa_tg_split 0
		.amdhsa_exception_fp_ieee_invalid_op 0
		.amdhsa_exception_fp_denorm_src 0
		.amdhsa_exception_fp_ieee_div_zero 0
		.amdhsa_exception_fp_ieee_overflow 0
		.amdhsa_exception_fp_ieee_underflow 0
		.amdhsa_exception_fp_ieee_inexact 0
		.amdhsa_exception_int_div_zero 0
	.end_amdhsa_kernel
	.section	.text._Z19reduce_valid_kernelILj255ELN6hipcub20BlockReduceAlgorithmE0EiEvPT1_S3_j,"axG",@progbits,_Z19reduce_valid_kernelILj255ELN6hipcub20BlockReduceAlgorithmE0EiEvPT1_S3_j,comdat
.Lfunc_end71:
	.size	_Z19reduce_valid_kernelILj255ELN6hipcub20BlockReduceAlgorithmE0EiEvPT1_S3_j, .Lfunc_end71-_Z19reduce_valid_kernelILj255ELN6hipcub20BlockReduceAlgorithmE0EiEvPT1_S3_j
                                        ; -- End function
	.section	.AMDGPU.csdata,"",@progbits
; Kernel info:
; codeLenInByte = 624
; NumSgprs: 12
; NumVgprs: 12
; NumAgprs: 0
; TotalNumVgprs: 12
; ScratchSize: 0
; MemoryBound: 0
; FloatMode: 240
; IeeeMode: 1
; LDSByteSize: 16 bytes/workgroup (compile time only)
; SGPRBlocks: 1
; VGPRBlocks: 1
; NumSGPRsForWavesPerEU: 12
; NumVGPRsForWavesPerEU: 12
; AccumOffset: 12
; Occupancy: 8
; WaveLimiterHint : 0
; COMPUTE_PGM_RSRC2:SCRATCH_EN: 0
; COMPUTE_PGM_RSRC2:USER_SGPR: 6
; COMPUTE_PGM_RSRC2:TRAP_HANDLER: 0
; COMPUTE_PGM_RSRC2:TGID_X_EN: 1
; COMPUTE_PGM_RSRC2:TGID_Y_EN: 0
; COMPUTE_PGM_RSRC2:TGID_Z_EN: 0
; COMPUTE_PGM_RSRC2:TIDIG_COMP_CNT: 0
; COMPUTE_PGM_RSRC3_GFX90A:ACCUM_OFFSET: 2
; COMPUTE_PGM_RSRC3_GFX90A:TG_SPLIT: 0
	.section	.text._Z19reduce_valid_kernelILj162ELN6hipcub20BlockReduceAlgorithmE0EiEvPT1_S3_j,"axG",@progbits,_Z19reduce_valid_kernelILj162ELN6hipcub20BlockReduceAlgorithmE0EiEvPT1_S3_j,comdat
	.protected	_Z19reduce_valid_kernelILj162ELN6hipcub20BlockReduceAlgorithmE0EiEvPT1_S3_j ; -- Begin function _Z19reduce_valid_kernelILj162ELN6hipcub20BlockReduceAlgorithmE0EiEvPT1_S3_j
	.globl	_Z19reduce_valid_kernelILj162ELN6hipcub20BlockReduceAlgorithmE0EiEvPT1_S3_j
	.p2align	8
	.type	_Z19reduce_valid_kernelILj162ELN6hipcub20BlockReduceAlgorithmE0EiEvPT1_S3_j,@function
_Z19reduce_valid_kernelILj162ELN6hipcub20BlockReduceAlgorithmE0EiEvPT1_S3_j: ; @_Z19reduce_valid_kernelILj162ELN6hipcub20BlockReduceAlgorithmE0EiEvPT1_S3_j
; %bb.0:
	s_load_dwordx4 s[0:3], s[4:5], 0x0
	s_load_dword s7, s[4:5], 0x10
	s_mul_i32 s4, s6, 0xa2
	v_add_u32_e32 v2, s4, v0
	v_mov_b32_e32 v3, 0
	v_lshlrev_b64 v[2:3], 2, v[2:3]
	s_waitcnt lgkmcnt(0)
	v_mov_b32_e32 v1, s1
	v_add_co_u32_e32 v2, vcc, s0, v2
	v_addc_co_u32_e32 v3, vcc, v1, v3, vcc
	global_load_dword v2, v[2:3], off
	v_mbcnt_lo_u32_b32 v1, -1, 0
	v_mbcnt_hi_u32_b32 v1, -1, v1
	v_and_b32_e32 v4, 63, v1
	v_cmp_ne_u32_e32 vcc, 63, v4
	v_addc_co_u32_e32 v10, vcc, 0, v1, vcc
	v_lshlrev_b32_e32 v10, 2, v10
	v_and_b32_e32 v3, 0xc0, v0
	v_add_u32_e32 v5, 1, v1
	v_cmp_gt_u32_e32 vcc, 62, v4
	v_sub_u32_e64 v3, s7, v3 clamp
	v_cndmask_b32_e64 v11, 0, 1, vcc
	v_cmp_lt_u32_e32 vcc, v5, v3
	v_lshlrev_b32_e32 v11, 1, v11
	v_add_lshl_u32 v11, v11, v1, 2
	v_add_u32_e32 v6, 2, v1
	v_add_u32_e32 v7, 4, v1
	;; [unrolled: 1-line block ×4, first 2 shown]
	s_waitcnt vmcnt(0)
	ds_bpermute_b32 v10, v10, v2
	s_waitcnt lgkmcnt(0)
	v_cndmask_b32_e32 v5, 0, v10, vcc
	v_add_u32_e32 v2, v5, v2
	ds_bpermute_b32 v5, v11, v2
	v_cmp_gt_u32_e32 vcc, 60, v4
	v_cndmask_b32_e64 v10, 0, 1, vcc
	v_cmp_lt_u32_e32 vcc, v6, v3
	v_lshlrev_b32_e32 v10, 2, v10
	s_waitcnt lgkmcnt(0)
	v_cndmask_b32_e32 v5, 0, v5, vcc
	v_add_lshl_u32 v10, v10, v1, 2
	v_add_u32_e32 v2, v2, v5
	ds_bpermute_b32 v5, v10, v2
	v_cmp_gt_u32_e32 vcc, 56, v4
	v_cndmask_b32_e64 v6, 0, 1, vcc
	v_cmp_lt_u32_e32 vcc, v7, v3
	v_lshlrev_b32_e32 v6, 3, v6
	s_waitcnt lgkmcnt(0)
	v_cndmask_b32_e32 v5, 0, v5, vcc
	v_add_lshl_u32 v6, v6, v1, 2
	;; [unrolled: 9-line block ×4, first 2 shown]
	v_add_u32_e32 v2, v2, v5
	ds_bpermute_b32 v4, v4, v2
	v_add_u32_e32 v5, 32, v1
	v_cmp_lt_u32_e32 vcc, v5, v3
	s_waitcnt lgkmcnt(0)
	v_cndmask_b32_e32 v3, 0, v4, vcc
	v_add_u32_e32 v2, v2, v3
	v_cmp_eq_u32_e32 vcc, 0, v1
	s_and_saveexec_b64 s[0:1], vcc
	s_cbranch_execz .LBB72_2
; %bb.1:
	v_lshrrev_b32_e32 v3, 4, v0
	v_and_b32_e32 v3, 12, v3
	ds_write_b32 v3, v2
.LBB72_2:
	s_or_b64 exec, exec, s[0:1]
	v_cmp_gt_u32_e32 vcc, 3, v0
	s_waitcnt lgkmcnt(0)
	s_barrier
	s_and_saveexec_b64 s[0:1], vcc
	s_cbranch_execz .LBB72_4
; %bb.3:
	v_lshlrev_b32_e32 v2, 2, v1
	ds_read_b32 v2, v2
	v_and_b32_e32 v3, 3, v1
	v_cmp_ne_u32_e32 vcc, 3, v3
	v_addc_co_u32_e32 v4, vcc, 0, v1, vcc
	v_lshlrev_b32_e32 v4, 2, v4
	s_waitcnt lgkmcnt(0)
	ds_bpermute_b32 v4, v4, v2
	s_add_i32 s7, s7, 63
	s_lshr_b32 s4, s7, 6
	v_add_u32_e32 v5, 1, v3
	v_cmp_gt_u32_e32 vcc, s4, v5
	s_waitcnt lgkmcnt(0)
	v_cndmask_b32_e32 v4, 0, v4, vcc
	v_cmp_gt_u32_e32 vcc, 2, v3
	v_add_u32_e32 v2, v4, v2
	v_cndmask_b32_e64 v4, 0, 1, vcc
	v_lshlrev_b32_e32 v4, 1, v4
	v_add_lshl_u32 v1, v4, v1, 2
	ds_bpermute_b32 v1, v1, v2
	v_add_u32_e32 v3, 2, v3
	v_cmp_gt_u32_e32 vcc, s4, v3
	s_waitcnt lgkmcnt(0)
	v_cndmask_b32_e32 v1, 0, v1, vcc
	v_add_u32_e32 v2, v2, v1
.LBB72_4:
	s_or_b64 exec, exec, s[0:1]
	s_mov_b32 s7, 0
	v_cmp_eq_u32_e32 vcc, 0, v0
	s_and_saveexec_b64 s[0:1], vcc
	s_cbranch_execz .LBB72_6
; %bb.5:
	s_lshl_b64 s[0:1], s[6:7], 2
	s_add_u32 s0, s2, s0
	s_addc_u32 s1, s3, s1
	v_mov_b32_e32 v0, 0
	global_store_dword v0, v2, s[0:1]
.LBB72_6:
	s_endpgm
	.section	.rodata,"a",@progbits
	.p2align	6, 0x0
	.amdhsa_kernel _Z19reduce_valid_kernelILj162ELN6hipcub20BlockReduceAlgorithmE0EiEvPT1_S3_j
		.amdhsa_group_segment_fixed_size 12
		.amdhsa_private_segment_fixed_size 0
		.amdhsa_kernarg_size 20
		.amdhsa_user_sgpr_count 6
		.amdhsa_user_sgpr_private_segment_buffer 1
		.amdhsa_user_sgpr_dispatch_ptr 0
		.amdhsa_user_sgpr_queue_ptr 0
		.amdhsa_user_sgpr_kernarg_segment_ptr 1
		.amdhsa_user_sgpr_dispatch_id 0
		.amdhsa_user_sgpr_flat_scratch_init 0
		.amdhsa_user_sgpr_kernarg_preload_length 0
		.amdhsa_user_sgpr_kernarg_preload_offset 0
		.amdhsa_user_sgpr_private_segment_size 0
		.amdhsa_uses_dynamic_stack 0
		.amdhsa_system_sgpr_private_segment_wavefront_offset 0
		.amdhsa_system_sgpr_workgroup_id_x 1
		.amdhsa_system_sgpr_workgroup_id_y 0
		.amdhsa_system_sgpr_workgroup_id_z 0
		.amdhsa_system_sgpr_workgroup_info 0
		.amdhsa_system_vgpr_workitem_id 0
		.amdhsa_next_free_vgpr 12
		.amdhsa_next_free_sgpr 8
		.amdhsa_accum_offset 12
		.amdhsa_reserve_vcc 1
		.amdhsa_reserve_flat_scratch 0
		.amdhsa_float_round_mode_32 0
		.amdhsa_float_round_mode_16_64 0
		.amdhsa_float_denorm_mode_32 3
		.amdhsa_float_denorm_mode_16_64 3
		.amdhsa_dx10_clamp 1
		.amdhsa_ieee_mode 1
		.amdhsa_fp16_overflow 0
		.amdhsa_tg_split 0
		.amdhsa_exception_fp_ieee_invalid_op 0
		.amdhsa_exception_fp_denorm_src 0
		.amdhsa_exception_fp_ieee_div_zero 0
		.amdhsa_exception_fp_ieee_overflow 0
		.amdhsa_exception_fp_ieee_underflow 0
		.amdhsa_exception_fp_ieee_inexact 0
		.amdhsa_exception_int_div_zero 0
	.end_amdhsa_kernel
	.section	.text._Z19reduce_valid_kernelILj162ELN6hipcub20BlockReduceAlgorithmE0EiEvPT1_S3_j,"axG",@progbits,_Z19reduce_valid_kernelILj162ELN6hipcub20BlockReduceAlgorithmE0EiEvPT1_S3_j,comdat
.Lfunc_end72:
	.size	_Z19reduce_valid_kernelILj162ELN6hipcub20BlockReduceAlgorithmE0EiEvPT1_S3_j, .Lfunc_end72-_Z19reduce_valid_kernelILj162ELN6hipcub20BlockReduceAlgorithmE0EiEvPT1_S3_j
                                        ; -- End function
	.section	.AMDGPU.csdata,"",@progbits
; Kernel info:
; codeLenInByte = 624
; NumSgprs: 12
; NumVgprs: 12
; NumAgprs: 0
; TotalNumVgprs: 12
; ScratchSize: 0
; MemoryBound: 0
; FloatMode: 240
; IeeeMode: 1
; LDSByteSize: 12 bytes/workgroup (compile time only)
; SGPRBlocks: 1
; VGPRBlocks: 1
; NumSGPRsForWavesPerEU: 12
; NumVGPRsForWavesPerEU: 12
; AccumOffset: 12
; Occupancy: 8
; WaveLimiterHint : 0
; COMPUTE_PGM_RSRC2:SCRATCH_EN: 0
; COMPUTE_PGM_RSRC2:USER_SGPR: 6
; COMPUTE_PGM_RSRC2:TRAP_HANDLER: 0
; COMPUTE_PGM_RSRC2:TGID_X_EN: 1
; COMPUTE_PGM_RSRC2:TGID_Y_EN: 0
; COMPUTE_PGM_RSRC2:TGID_Z_EN: 0
; COMPUTE_PGM_RSRC2:TIDIG_COMP_CNT: 0
; COMPUTE_PGM_RSRC3_GFX90A:ACCUM_OFFSET: 2
; COMPUTE_PGM_RSRC3_GFX90A:TG_SPLIT: 0
	.section	.text._Z19reduce_valid_kernelILj129ELN6hipcub20BlockReduceAlgorithmE0EiEvPT1_S3_j,"axG",@progbits,_Z19reduce_valid_kernelILj129ELN6hipcub20BlockReduceAlgorithmE0EiEvPT1_S3_j,comdat
	.protected	_Z19reduce_valid_kernelILj129ELN6hipcub20BlockReduceAlgorithmE0EiEvPT1_S3_j ; -- Begin function _Z19reduce_valid_kernelILj129ELN6hipcub20BlockReduceAlgorithmE0EiEvPT1_S3_j
	.globl	_Z19reduce_valid_kernelILj129ELN6hipcub20BlockReduceAlgorithmE0EiEvPT1_S3_j
	.p2align	8
	.type	_Z19reduce_valid_kernelILj129ELN6hipcub20BlockReduceAlgorithmE0EiEvPT1_S3_j,@function
_Z19reduce_valid_kernelILj129ELN6hipcub20BlockReduceAlgorithmE0EiEvPT1_S3_j: ; @_Z19reduce_valid_kernelILj129ELN6hipcub20BlockReduceAlgorithmE0EiEvPT1_S3_j
; %bb.0:
	s_load_dwordx4 s[0:3], s[4:5], 0x0
	s_load_dword s7, s[4:5], 0x10
	s_mul_i32 s4, s6, 0x81
	v_add_u32_e32 v2, s4, v0
	v_mov_b32_e32 v3, 0
	v_lshlrev_b64 v[2:3], 2, v[2:3]
	s_waitcnt lgkmcnt(0)
	v_mov_b32_e32 v1, s1
	v_add_co_u32_e32 v2, vcc, s0, v2
	v_addc_co_u32_e32 v3, vcc, v1, v3, vcc
	global_load_dword v2, v[2:3], off
	v_mbcnt_lo_u32_b32 v1, -1, 0
	v_mbcnt_hi_u32_b32 v1, -1, v1
	v_and_b32_e32 v4, 63, v1
	v_cmp_ne_u32_e32 vcc, 63, v4
	v_addc_co_u32_e32 v10, vcc, 0, v1, vcc
	v_lshlrev_b32_e32 v10, 2, v10
	v_and_b32_e32 v3, 0xc0, v0
	v_add_u32_e32 v5, 1, v1
	v_cmp_gt_u32_e32 vcc, 62, v4
	v_sub_u32_e64 v3, s7, v3 clamp
	v_cndmask_b32_e64 v11, 0, 1, vcc
	v_cmp_lt_u32_e32 vcc, v5, v3
	v_lshlrev_b32_e32 v11, 1, v11
	v_add_lshl_u32 v11, v11, v1, 2
	v_add_u32_e32 v6, 2, v1
	v_add_u32_e32 v7, 4, v1
	;; [unrolled: 1-line block ×4, first 2 shown]
	s_waitcnt vmcnt(0)
	ds_bpermute_b32 v10, v10, v2
	s_waitcnt lgkmcnt(0)
	v_cndmask_b32_e32 v5, 0, v10, vcc
	v_add_u32_e32 v2, v5, v2
	ds_bpermute_b32 v5, v11, v2
	v_cmp_gt_u32_e32 vcc, 60, v4
	v_cndmask_b32_e64 v10, 0, 1, vcc
	v_cmp_lt_u32_e32 vcc, v6, v3
	v_lshlrev_b32_e32 v10, 2, v10
	s_waitcnt lgkmcnt(0)
	v_cndmask_b32_e32 v5, 0, v5, vcc
	v_add_lshl_u32 v10, v10, v1, 2
	v_add_u32_e32 v2, v2, v5
	ds_bpermute_b32 v5, v10, v2
	v_cmp_gt_u32_e32 vcc, 56, v4
	v_cndmask_b32_e64 v6, 0, 1, vcc
	v_cmp_lt_u32_e32 vcc, v7, v3
	v_lshlrev_b32_e32 v6, 3, v6
	s_waitcnt lgkmcnt(0)
	v_cndmask_b32_e32 v5, 0, v5, vcc
	v_add_lshl_u32 v6, v6, v1, 2
	;; [unrolled: 9-line block ×4, first 2 shown]
	v_add_u32_e32 v2, v2, v5
	ds_bpermute_b32 v4, v4, v2
	v_add_u32_e32 v5, 32, v1
	v_cmp_lt_u32_e32 vcc, v5, v3
	s_waitcnt lgkmcnt(0)
	v_cndmask_b32_e32 v3, 0, v4, vcc
	v_add_u32_e32 v2, v2, v3
	v_cmp_eq_u32_e32 vcc, 0, v1
	s_and_saveexec_b64 s[0:1], vcc
	s_cbranch_execz .LBB73_2
; %bb.1:
	v_lshrrev_b32_e32 v3, 4, v0
	v_and_b32_e32 v3, 12, v3
	ds_write_b32 v3, v2
.LBB73_2:
	s_or_b64 exec, exec, s[0:1]
	v_cmp_gt_u32_e32 vcc, 3, v0
	s_waitcnt lgkmcnt(0)
	s_barrier
	s_and_saveexec_b64 s[0:1], vcc
	s_cbranch_execz .LBB73_4
; %bb.3:
	v_lshlrev_b32_e32 v2, 2, v1
	ds_read_b32 v2, v2
	v_and_b32_e32 v3, 3, v1
	v_cmp_ne_u32_e32 vcc, 3, v3
	v_addc_co_u32_e32 v4, vcc, 0, v1, vcc
	v_lshlrev_b32_e32 v4, 2, v4
	s_waitcnt lgkmcnt(0)
	ds_bpermute_b32 v4, v4, v2
	s_add_i32 s7, s7, 63
	s_lshr_b32 s4, s7, 6
	v_add_u32_e32 v5, 1, v3
	v_cmp_gt_u32_e32 vcc, s4, v5
	s_waitcnt lgkmcnt(0)
	v_cndmask_b32_e32 v4, 0, v4, vcc
	v_cmp_gt_u32_e32 vcc, 2, v3
	v_add_u32_e32 v2, v4, v2
	v_cndmask_b32_e64 v4, 0, 1, vcc
	v_lshlrev_b32_e32 v4, 1, v4
	v_add_lshl_u32 v1, v4, v1, 2
	ds_bpermute_b32 v1, v1, v2
	v_add_u32_e32 v3, 2, v3
	v_cmp_gt_u32_e32 vcc, s4, v3
	s_waitcnt lgkmcnt(0)
	v_cndmask_b32_e32 v1, 0, v1, vcc
	v_add_u32_e32 v2, v2, v1
.LBB73_4:
	s_or_b64 exec, exec, s[0:1]
	s_mov_b32 s7, 0
	v_cmp_eq_u32_e32 vcc, 0, v0
	s_and_saveexec_b64 s[0:1], vcc
	s_cbranch_execz .LBB73_6
; %bb.5:
	s_lshl_b64 s[0:1], s[6:7], 2
	s_add_u32 s0, s2, s0
	s_addc_u32 s1, s3, s1
	v_mov_b32_e32 v0, 0
	global_store_dword v0, v2, s[0:1]
.LBB73_6:
	s_endpgm
	.section	.rodata,"a",@progbits
	.p2align	6, 0x0
	.amdhsa_kernel _Z19reduce_valid_kernelILj129ELN6hipcub20BlockReduceAlgorithmE0EiEvPT1_S3_j
		.amdhsa_group_segment_fixed_size 12
		.amdhsa_private_segment_fixed_size 0
		.amdhsa_kernarg_size 20
		.amdhsa_user_sgpr_count 6
		.amdhsa_user_sgpr_private_segment_buffer 1
		.amdhsa_user_sgpr_dispatch_ptr 0
		.amdhsa_user_sgpr_queue_ptr 0
		.amdhsa_user_sgpr_kernarg_segment_ptr 1
		.amdhsa_user_sgpr_dispatch_id 0
		.amdhsa_user_sgpr_flat_scratch_init 0
		.amdhsa_user_sgpr_kernarg_preload_length 0
		.amdhsa_user_sgpr_kernarg_preload_offset 0
		.amdhsa_user_sgpr_private_segment_size 0
		.amdhsa_uses_dynamic_stack 0
		.amdhsa_system_sgpr_private_segment_wavefront_offset 0
		.amdhsa_system_sgpr_workgroup_id_x 1
		.amdhsa_system_sgpr_workgroup_id_y 0
		.amdhsa_system_sgpr_workgroup_id_z 0
		.amdhsa_system_sgpr_workgroup_info 0
		.amdhsa_system_vgpr_workitem_id 0
		.amdhsa_next_free_vgpr 12
		.amdhsa_next_free_sgpr 8
		.amdhsa_accum_offset 12
		.amdhsa_reserve_vcc 1
		.amdhsa_reserve_flat_scratch 0
		.amdhsa_float_round_mode_32 0
		.amdhsa_float_round_mode_16_64 0
		.amdhsa_float_denorm_mode_32 3
		.amdhsa_float_denorm_mode_16_64 3
		.amdhsa_dx10_clamp 1
		.amdhsa_ieee_mode 1
		.amdhsa_fp16_overflow 0
		.amdhsa_tg_split 0
		.amdhsa_exception_fp_ieee_invalid_op 0
		.amdhsa_exception_fp_denorm_src 0
		.amdhsa_exception_fp_ieee_div_zero 0
		.amdhsa_exception_fp_ieee_overflow 0
		.amdhsa_exception_fp_ieee_underflow 0
		.amdhsa_exception_fp_ieee_inexact 0
		.amdhsa_exception_int_div_zero 0
	.end_amdhsa_kernel
	.section	.text._Z19reduce_valid_kernelILj129ELN6hipcub20BlockReduceAlgorithmE0EiEvPT1_S3_j,"axG",@progbits,_Z19reduce_valid_kernelILj129ELN6hipcub20BlockReduceAlgorithmE0EiEvPT1_S3_j,comdat
.Lfunc_end73:
	.size	_Z19reduce_valid_kernelILj129ELN6hipcub20BlockReduceAlgorithmE0EiEvPT1_S3_j, .Lfunc_end73-_Z19reduce_valid_kernelILj129ELN6hipcub20BlockReduceAlgorithmE0EiEvPT1_S3_j
                                        ; -- End function
	.section	.AMDGPU.csdata,"",@progbits
; Kernel info:
; codeLenInByte = 624
; NumSgprs: 12
; NumVgprs: 12
; NumAgprs: 0
; TotalNumVgprs: 12
; ScratchSize: 0
; MemoryBound: 0
; FloatMode: 240
; IeeeMode: 1
; LDSByteSize: 12 bytes/workgroup (compile time only)
; SGPRBlocks: 1
; VGPRBlocks: 1
; NumSGPRsForWavesPerEU: 12
; NumVGPRsForWavesPerEU: 12
; AccumOffset: 12
; Occupancy: 8
; WaveLimiterHint : 0
; COMPUTE_PGM_RSRC2:SCRATCH_EN: 0
; COMPUTE_PGM_RSRC2:USER_SGPR: 6
; COMPUTE_PGM_RSRC2:TRAP_HANDLER: 0
; COMPUTE_PGM_RSRC2:TGID_X_EN: 1
; COMPUTE_PGM_RSRC2:TGID_Y_EN: 0
; COMPUTE_PGM_RSRC2:TGID_Z_EN: 0
; COMPUTE_PGM_RSRC2:TIDIG_COMP_CNT: 0
; COMPUTE_PGM_RSRC3_GFX90A:ACCUM_OFFSET: 2
; COMPUTE_PGM_RSRC3_GFX90A:TG_SPLIT: 0
	.section	.text._Z19reduce_valid_kernelILj37ELN6hipcub20BlockReduceAlgorithmE0EiEvPT1_S3_j,"axG",@progbits,_Z19reduce_valid_kernelILj37ELN6hipcub20BlockReduceAlgorithmE0EiEvPT1_S3_j,comdat
	.protected	_Z19reduce_valid_kernelILj37ELN6hipcub20BlockReduceAlgorithmE0EiEvPT1_S3_j ; -- Begin function _Z19reduce_valid_kernelILj37ELN6hipcub20BlockReduceAlgorithmE0EiEvPT1_S3_j
	.globl	_Z19reduce_valid_kernelILj37ELN6hipcub20BlockReduceAlgorithmE0EiEvPT1_S3_j
	.p2align	8
	.type	_Z19reduce_valid_kernelILj37ELN6hipcub20BlockReduceAlgorithmE0EiEvPT1_S3_j,@function
_Z19reduce_valid_kernelILj37ELN6hipcub20BlockReduceAlgorithmE0EiEvPT1_S3_j: ; @_Z19reduce_valid_kernelILj37ELN6hipcub20BlockReduceAlgorithmE0EiEvPT1_S3_j
; %bb.0:
	s_load_dwordx4 s[0:3], s[4:5], 0x0
	s_load_dword s8, s[4:5], 0x10
	v_mad_u64_u32 v[2:3], s[4:5], s6, 37, v[0:1]
	v_mov_b32_e32 v3, 0
	v_lshlrev_b64 v[4:5], 2, v[2:3]
	s_waitcnt lgkmcnt(0)
	v_mov_b32_e32 v1, s1
	v_add_co_u32_e32 v4, vcc, s0, v4
	v_addc_co_u32_e32 v5, vcc, v1, v5, vcc
	global_load_dword v2, v[4:5], off
	v_mbcnt_lo_u32_b32 v1, -1, 0
	v_mbcnt_hi_u32_b32 v1, -1, v1
	v_and_b32_e32 v4, 63, v1
	v_cmp_ne_u32_e32 vcc, 63, v4
	v_addc_co_u32_e32 v10, vcc, 0, v1, vcc
	v_lshlrev_b32_e32 v10, 2, v10
	v_add_u32_e32 v5, 1, v1
	v_cmp_gt_u32_e32 vcc, 62, v4
	v_cndmask_b32_e64 v11, 0, 1, vcc
	v_cmp_gt_u32_e32 vcc, s8, v5
	v_lshlrev_b32_e32 v11, 1, v11
	v_add_lshl_u32 v11, v11, v1, 2
	v_add_u32_e32 v6, 2, v1
	v_add_u32_e32 v7, 4, v1
	;; [unrolled: 1-line block ×4, first 2 shown]
	s_mov_b32 s7, 0
	s_waitcnt vmcnt(0)
	ds_bpermute_b32 v10, v10, v2
	s_waitcnt lgkmcnt(0)
	v_cndmask_b32_e32 v5, 0, v10, vcc
	v_add_u32_e32 v2, v5, v2
	ds_bpermute_b32 v5, v11, v2
	v_cmp_gt_u32_e32 vcc, 60, v4
	v_cndmask_b32_e64 v10, 0, 1, vcc
	v_cmp_gt_u32_e32 vcc, s8, v6
	v_lshlrev_b32_e32 v10, 2, v10
	s_waitcnt lgkmcnt(0)
	v_cndmask_b32_e32 v5, 0, v5, vcc
	v_add_lshl_u32 v10, v10, v1, 2
	v_add_u32_e32 v2, v2, v5
	ds_bpermute_b32 v5, v10, v2
	v_cmp_gt_u32_e32 vcc, 56, v4
	v_cndmask_b32_e64 v6, 0, 1, vcc
	v_cmp_gt_u32_e32 vcc, s8, v7
	v_lshlrev_b32_e32 v6, 3, v6
	s_waitcnt lgkmcnt(0)
	v_cndmask_b32_e32 v5, 0, v5, vcc
	v_add_lshl_u32 v6, v6, v1, 2
	;; [unrolled: 9-line block ×3, first 2 shown]
	v_add_u32_e32 v2, v2, v5
	ds_bpermute_b32 v5, v6, v2
	v_cmp_gt_u32_e32 vcc, 32, v4
	v_cndmask_b32_e64 v4, 0, 1, vcc
	v_cmp_gt_u32_e32 vcc, s8, v9
	v_lshlrev_b32_e32 v4, 5, v4
	s_waitcnt lgkmcnt(0)
	v_cndmask_b32_e32 v5, 0, v5, vcc
	v_add_u32_e32 v2, v2, v5
	v_add_lshl_u32 v4, v4, v1, 2
	ds_bpermute_b32 v4, v4, v2
	v_cmp_eq_u32_e32 vcc, 0, v0
	s_and_saveexec_b64 s[0:1], vcc
	s_cbranch_execz .LBB74_2
; %bb.1:
	v_add_u32_e32 v0, 32, v1
	s_lshl_b64 s[0:1], s[6:7], 2
	v_cmp_gt_u32_e32 vcc, s8, v0
	s_add_u32 s0, s2, s0
	s_waitcnt lgkmcnt(0)
	v_cndmask_b32_e32 v0, 0, v4, vcc
	s_addc_u32 s1, s3, s1
	v_add_u32_e32 v0, v2, v0
	global_store_dword v3, v0, s[0:1]
.LBB74_2:
	s_endpgm
	.section	.rodata,"a",@progbits
	.p2align	6, 0x0
	.amdhsa_kernel _Z19reduce_valid_kernelILj37ELN6hipcub20BlockReduceAlgorithmE0EiEvPT1_S3_j
		.amdhsa_group_segment_fixed_size 0
		.amdhsa_private_segment_fixed_size 0
		.amdhsa_kernarg_size 20
		.amdhsa_user_sgpr_count 6
		.amdhsa_user_sgpr_private_segment_buffer 1
		.amdhsa_user_sgpr_dispatch_ptr 0
		.amdhsa_user_sgpr_queue_ptr 0
		.amdhsa_user_sgpr_kernarg_segment_ptr 1
		.amdhsa_user_sgpr_dispatch_id 0
		.amdhsa_user_sgpr_flat_scratch_init 0
		.amdhsa_user_sgpr_kernarg_preload_length 0
		.amdhsa_user_sgpr_kernarg_preload_offset 0
		.amdhsa_user_sgpr_private_segment_size 0
		.amdhsa_uses_dynamic_stack 0
		.amdhsa_system_sgpr_private_segment_wavefront_offset 0
		.amdhsa_system_sgpr_workgroup_id_x 1
		.amdhsa_system_sgpr_workgroup_id_y 0
		.amdhsa_system_sgpr_workgroup_id_z 0
		.amdhsa_system_sgpr_workgroup_info 0
		.amdhsa_system_vgpr_workitem_id 0
		.amdhsa_next_free_vgpr 12
		.amdhsa_next_free_sgpr 9
		.amdhsa_accum_offset 12
		.amdhsa_reserve_vcc 1
		.amdhsa_reserve_flat_scratch 0
		.amdhsa_float_round_mode_32 0
		.amdhsa_float_round_mode_16_64 0
		.amdhsa_float_denorm_mode_32 3
		.amdhsa_float_denorm_mode_16_64 3
		.amdhsa_dx10_clamp 1
		.amdhsa_ieee_mode 1
		.amdhsa_fp16_overflow 0
		.amdhsa_tg_split 0
		.amdhsa_exception_fp_ieee_invalid_op 0
		.amdhsa_exception_fp_denorm_src 0
		.amdhsa_exception_fp_ieee_div_zero 0
		.amdhsa_exception_fp_ieee_overflow 0
		.amdhsa_exception_fp_ieee_underflow 0
		.amdhsa_exception_fp_ieee_inexact 0
		.amdhsa_exception_int_div_zero 0
	.end_amdhsa_kernel
	.section	.text._Z19reduce_valid_kernelILj37ELN6hipcub20BlockReduceAlgorithmE0EiEvPT1_S3_j,"axG",@progbits,_Z19reduce_valid_kernelILj37ELN6hipcub20BlockReduceAlgorithmE0EiEvPT1_S3_j,comdat
.Lfunc_end74:
	.size	_Z19reduce_valid_kernelILj37ELN6hipcub20BlockReduceAlgorithmE0EiEvPT1_S3_j, .Lfunc_end74-_Z19reduce_valid_kernelILj37ELN6hipcub20BlockReduceAlgorithmE0EiEvPT1_S3_j
                                        ; -- End function
	.section	.AMDGPU.csdata,"",@progbits
; Kernel info:
; codeLenInByte = 424
; NumSgprs: 13
; NumVgprs: 12
; NumAgprs: 0
; TotalNumVgprs: 12
; ScratchSize: 0
; MemoryBound: 0
; FloatMode: 240
; IeeeMode: 1
; LDSByteSize: 0 bytes/workgroup (compile time only)
; SGPRBlocks: 1
; VGPRBlocks: 1
; NumSGPRsForWavesPerEU: 13
; NumVGPRsForWavesPerEU: 12
; AccumOffset: 12
; Occupancy: 8
; WaveLimiterHint : 0
; COMPUTE_PGM_RSRC2:SCRATCH_EN: 0
; COMPUTE_PGM_RSRC2:USER_SGPR: 6
; COMPUTE_PGM_RSRC2:TRAP_HANDLER: 0
; COMPUTE_PGM_RSRC2:TGID_X_EN: 1
; COMPUTE_PGM_RSRC2:TGID_Y_EN: 0
; COMPUTE_PGM_RSRC2:TGID_Z_EN: 0
; COMPUTE_PGM_RSRC2:TIDIG_COMP_CNT: 0
; COMPUTE_PGM_RSRC3_GFX90A:ACCUM_OFFSET: 2
; COMPUTE_PGM_RSRC3_GFX90A:TG_SPLIT: 0
	.section	.text._Z19reduce_valid_kernelILj65ELN6hipcub20BlockReduceAlgorithmE0EiEvPT1_S3_j,"axG",@progbits,_Z19reduce_valid_kernelILj65ELN6hipcub20BlockReduceAlgorithmE0EiEvPT1_S3_j,comdat
	.protected	_Z19reduce_valid_kernelILj65ELN6hipcub20BlockReduceAlgorithmE0EiEvPT1_S3_j ; -- Begin function _Z19reduce_valid_kernelILj65ELN6hipcub20BlockReduceAlgorithmE0EiEvPT1_S3_j
	.globl	_Z19reduce_valid_kernelILj65ELN6hipcub20BlockReduceAlgorithmE0EiEvPT1_S3_j
	.p2align	8
	.type	_Z19reduce_valid_kernelILj65ELN6hipcub20BlockReduceAlgorithmE0EiEvPT1_S3_j,@function
_Z19reduce_valid_kernelILj65ELN6hipcub20BlockReduceAlgorithmE0EiEvPT1_S3_j: ; @_Z19reduce_valid_kernelILj65ELN6hipcub20BlockReduceAlgorithmE0EiEvPT1_S3_j
; %bb.0:
	s_load_dwordx4 s[0:3], s[4:5], 0x0
	s_load_dword s7, s[4:5], 0x10
	s_mul_i32 s4, s6, 0x41
	v_add_u32_e32 v2, s4, v0
	v_mov_b32_e32 v3, 0
	v_lshlrev_b64 v[2:3], 2, v[2:3]
	s_waitcnt lgkmcnt(0)
	v_mov_b32_e32 v1, s1
	v_add_co_u32_e32 v2, vcc, s0, v2
	v_addc_co_u32_e32 v3, vcc, v1, v3, vcc
	global_load_dword v2, v[2:3], off
	v_mbcnt_lo_u32_b32 v1, -1, 0
	v_mbcnt_hi_u32_b32 v1, -1, v1
	v_and_b32_e32 v4, 63, v1
	v_cmp_ne_u32_e32 vcc, 63, v4
	v_addc_co_u32_e32 v10, vcc, 0, v1, vcc
	v_lshlrev_b32_e32 v10, 2, v10
	v_and_b32_e32 v3, 64, v0
	v_add_u32_e32 v5, 1, v1
	v_cmp_gt_u32_e32 vcc, 62, v4
	v_sub_u32_e64 v3, s7, v3 clamp
	v_cndmask_b32_e64 v11, 0, 1, vcc
	v_cmp_lt_u32_e32 vcc, v5, v3
	v_lshlrev_b32_e32 v11, 1, v11
	v_add_lshl_u32 v11, v11, v1, 2
	v_add_u32_e32 v6, 2, v1
	v_add_u32_e32 v7, 4, v1
	;; [unrolled: 1-line block ×4, first 2 shown]
	s_waitcnt vmcnt(0)
	ds_bpermute_b32 v10, v10, v2
	s_waitcnt lgkmcnt(0)
	v_cndmask_b32_e32 v5, 0, v10, vcc
	v_add_u32_e32 v2, v5, v2
	ds_bpermute_b32 v5, v11, v2
	v_cmp_gt_u32_e32 vcc, 60, v4
	v_cndmask_b32_e64 v10, 0, 1, vcc
	v_cmp_lt_u32_e32 vcc, v6, v3
	v_lshlrev_b32_e32 v10, 2, v10
	s_waitcnt lgkmcnt(0)
	v_cndmask_b32_e32 v5, 0, v5, vcc
	v_add_lshl_u32 v10, v10, v1, 2
	v_add_u32_e32 v2, v2, v5
	ds_bpermute_b32 v5, v10, v2
	v_cmp_gt_u32_e32 vcc, 56, v4
	v_cndmask_b32_e64 v6, 0, 1, vcc
	v_cmp_lt_u32_e32 vcc, v7, v3
	v_lshlrev_b32_e32 v6, 3, v6
	s_waitcnt lgkmcnt(0)
	v_cndmask_b32_e32 v5, 0, v5, vcc
	v_add_lshl_u32 v6, v6, v1, 2
	;; [unrolled: 9-line block ×4, first 2 shown]
	v_add_u32_e32 v2, v2, v5
	ds_bpermute_b32 v4, v4, v2
	v_add_u32_e32 v5, 32, v1
	v_cmp_lt_u32_e32 vcc, v5, v3
	s_waitcnt lgkmcnt(0)
	v_cndmask_b32_e32 v3, 0, v4, vcc
	v_add_u32_e32 v2, v2, v3
	v_cmp_eq_u32_e32 vcc, 0, v1
	s_and_saveexec_b64 s[0:1], vcc
	s_cbranch_execz .LBB75_2
; %bb.1:
	v_lshrrev_b32_e32 v3, 4, v0
	v_and_b32_e32 v3, 4, v3
	ds_write_b32 v3, v2
.LBB75_2:
	s_or_b64 exec, exec, s[0:1]
	v_cmp_gt_u32_e32 vcc, 2, v0
	s_waitcnt lgkmcnt(0)
	s_barrier
	s_and_saveexec_b64 s[0:1], vcc
	s_cbranch_execz .LBB75_4
; %bb.3:
	v_lshlrev_b32_e32 v2, 2, v1
	ds_read_b32 v3, v2
	v_or_b32_e32 v2, 4, v2
	s_add_i32 s7, s7, 63
	v_and_b32_e32 v1, 1, v1
	s_lshr_b32 s4, s7, 6
	s_waitcnt lgkmcnt(0)
	ds_bpermute_b32 v2, v2, v3
	v_add_u32_e32 v1, 1, v1
	v_cmp_gt_u32_e32 vcc, s4, v1
	s_waitcnt lgkmcnt(0)
	v_cndmask_b32_e32 v1, 0, v2, vcc
	v_add_u32_e32 v2, v1, v3
.LBB75_4:
	s_or_b64 exec, exec, s[0:1]
	s_mov_b32 s7, 0
	v_cmp_eq_u32_e32 vcc, 0, v0
	s_and_saveexec_b64 s[0:1], vcc
	s_cbranch_execz .LBB75_6
; %bb.5:
	s_lshl_b64 s[0:1], s[6:7], 2
	s_add_u32 s0, s2, s0
	s_addc_u32 s1, s3, s1
	v_mov_b32_e32 v0, 0
	global_store_dword v0, v2, s[0:1]
.LBB75_6:
	s_endpgm
	.section	.rodata,"a",@progbits
	.p2align	6, 0x0
	.amdhsa_kernel _Z19reduce_valid_kernelILj65ELN6hipcub20BlockReduceAlgorithmE0EiEvPT1_S3_j
		.amdhsa_group_segment_fixed_size 8
		.amdhsa_private_segment_fixed_size 0
		.amdhsa_kernarg_size 20
		.amdhsa_user_sgpr_count 6
		.amdhsa_user_sgpr_private_segment_buffer 1
		.amdhsa_user_sgpr_dispatch_ptr 0
		.amdhsa_user_sgpr_queue_ptr 0
		.amdhsa_user_sgpr_kernarg_segment_ptr 1
		.amdhsa_user_sgpr_dispatch_id 0
		.amdhsa_user_sgpr_flat_scratch_init 0
		.amdhsa_user_sgpr_kernarg_preload_length 0
		.amdhsa_user_sgpr_kernarg_preload_offset 0
		.amdhsa_user_sgpr_private_segment_size 0
		.amdhsa_uses_dynamic_stack 0
		.amdhsa_system_sgpr_private_segment_wavefront_offset 0
		.amdhsa_system_sgpr_workgroup_id_x 1
		.amdhsa_system_sgpr_workgroup_id_y 0
		.amdhsa_system_sgpr_workgroup_id_z 0
		.amdhsa_system_sgpr_workgroup_info 0
		.amdhsa_system_vgpr_workitem_id 0
		.amdhsa_next_free_vgpr 12
		.amdhsa_next_free_sgpr 8
		.amdhsa_accum_offset 12
		.amdhsa_reserve_vcc 1
		.amdhsa_reserve_flat_scratch 0
		.amdhsa_float_round_mode_32 0
		.amdhsa_float_round_mode_16_64 0
		.amdhsa_float_denorm_mode_32 3
		.amdhsa_float_denorm_mode_16_64 3
		.amdhsa_dx10_clamp 1
		.amdhsa_ieee_mode 1
		.amdhsa_fp16_overflow 0
		.amdhsa_tg_split 0
		.amdhsa_exception_fp_ieee_invalid_op 0
		.amdhsa_exception_fp_denorm_src 0
		.amdhsa_exception_fp_ieee_div_zero 0
		.amdhsa_exception_fp_ieee_overflow 0
		.amdhsa_exception_fp_ieee_underflow 0
		.amdhsa_exception_fp_ieee_inexact 0
		.amdhsa_exception_int_div_zero 0
	.end_amdhsa_kernel
	.section	.text._Z19reduce_valid_kernelILj65ELN6hipcub20BlockReduceAlgorithmE0EiEvPT1_S3_j,"axG",@progbits,_Z19reduce_valid_kernelILj65ELN6hipcub20BlockReduceAlgorithmE0EiEvPT1_S3_j,comdat
.Lfunc_end75:
	.size	_Z19reduce_valid_kernelILj65ELN6hipcub20BlockReduceAlgorithmE0EiEvPT1_S3_j, .Lfunc_end75-_Z19reduce_valid_kernelILj65ELN6hipcub20BlockReduceAlgorithmE0EiEvPT1_S3_j
                                        ; -- End function
	.section	.AMDGPU.csdata,"",@progbits
; Kernel info:
; codeLenInByte = 560
; NumSgprs: 12
; NumVgprs: 12
; NumAgprs: 0
; TotalNumVgprs: 12
; ScratchSize: 0
; MemoryBound: 0
; FloatMode: 240
; IeeeMode: 1
; LDSByteSize: 8 bytes/workgroup (compile time only)
; SGPRBlocks: 1
; VGPRBlocks: 1
; NumSGPRsForWavesPerEU: 12
; NumVGPRsForWavesPerEU: 12
; AccumOffset: 12
; Occupancy: 8
; WaveLimiterHint : 0
; COMPUTE_PGM_RSRC2:SCRATCH_EN: 0
; COMPUTE_PGM_RSRC2:USER_SGPR: 6
; COMPUTE_PGM_RSRC2:TRAP_HANDLER: 0
; COMPUTE_PGM_RSRC2:TGID_X_EN: 1
; COMPUTE_PGM_RSRC2:TGID_Y_EN: 0
; COMPUTE_PGM_RSRC2:TGID_Z_EN: 0
; COMPUTE_PGM_RSRC2:TIDIG_COMP_CNT: 0
; COMPUTE_PGM_RSRC3_GFX90A:ACCUM_OFFSET: 2
; COMPUTE_PGM_RSRC3_GFX90A:TG_SPLIT: 0
	.section	.text._Z19reduce_valid_kernelILj1024ELN6hipcub20BlockReduceAlgorithmE0EiEvPT1_S3_j,"axG",@progbits,_Z19reduce_valid_kernelILj1024ELN6hipcub20BlockReduceAlgorithmE0EiEvPT1_S3_j,comdat
	.protected	_Z19reduce_valid_kernelILj1024ELN6hipcub20BlockReduceAlgorithmE0EiEvPT1_S3_j ; -- Begin function _Z19reduce_valid_kernelILj1024ELN6hipcub20BlockReduceAlgorithmE0EiEvPT1_S3_j
	.globl	_Z19reduce_valid_kernelILj1024ELN6hipcub20BlockReduceAlgorithmE0EiEvPT1_S3_j
	.p2align	8
	.type	_Z19reduce_valid_kernelILj1024ELN6hipcub20BlockReduceAlgorithmE0EiEvPT1_S3_j,@function
_Z19reduce_valid_kernelILj1024ELN6hipcub20BlockReduceAlgorithmE0EiEvPT1_S3_j: ; @_Z19reduce_valid_kernelILj1024ELN6hipcub20BlockReduceAlgorithmE0EiEvPT1_S3_j
; %bb.0:
	s_load_dwordx4 s[0:3], s[4:5], 0x0
	s_load_dword s7, s[4:5], 0x10
	v_lshl_or_b32 v2, s6, 10, v0
	v_mov_b32_e32 v3, 0
	v_lshlrev_b64 v[2:3], 2, v[2:3]
	s_waitcnt lgkmcnt(0)
	v_mov_b32_e32 v1, s1
	v_add_co_u32_e32 v2, vcc, s0, v2
	v_addc_co_u32_e32 v3, vcc, v1, v3, vcc
	global_load_dword v2, v[2:3], off
	v_mbcnt_lo_u32_b32 v1, -1, 0
	v_mbcnt_hi_u32_b32 v1, -1, v1
	v_and_b32_e32 v4, 63, v1
	v_cmp_ne_u32_e32 vcc, 63, v4
	v_addc_co_u32_e32 v10, vcc, 0, v1, vcc
	v_lshlrev_b32_e32 v10, 2, v10
	v_and_b32_e32 v3, 0x3c0, v0
	v_add_u32_e32 v5, 1, v1
	v_cmp_gt_u32_e32 vcc, 62, v4
	v_sub_u32_e64 v3, s7, v3 clamp
	v_cndmask_b32_e64 v11, 0, 1, vcc
	v_cmp_lt_u32_e32 vcc, v5, v3
	v_lshlrev_b32_e32 v11, 1, v11
	v_add_lshl_u32 v11, v11, v1, 2
	v_add_u32_e32 v6, 2, v1
	v_add_u32_e32 v7, 4, v1
	v_add_u32_e32 v8, 8, v1
	v_add_u32_e32 v9, 16, v1
	s_waitcnt vmcnt(0)
	ds_bpermute_b32 v10, v10, v2
	s_waitcnt lgkmcnt(0)
	v_cndmask_b32_e32 v5, 0, v10, vcc
	v_add_u32_e32 v2, v5, v2
	ds_bpermute_b32 v5, v11, v2
	v_cmp_gt_u32_e32 vcc, 60, v4
	v_cndmask_b32_e64 v10, 0, 1, vcc
	v_cmp_lt_u32_e32 vcc, v6, v3
	v_lshlrev_b32_e32 v10, 2, v10
	s_waitcnt lgkmcnt(0)
	v_cndmask_b32_e32 v5, 0, v5, vcc
	v_add_lshl_u32 v10, v10, v1, 2
	v_add_u32_e32 v2, v2, v5
	ds_bpermute_b32 v5, v10, v2
	v_cmp_gt_u32_e32 vcc, 56, v4
	v_cndmask_b32_e64 v6, 0, 1, vcc
	v_cmp_lt_u32_e32 vcc, v7, v3
	v_lshlrev_b32_e32 v6, 3, v6
	s_waitcnt lgkmcnt(0)
	v_cndmask_b32_e32 v5, 0, v5, vcc
	v_add_lshl_u32 v6, v6, v1, 2
	;; [unrolled: 9-line block ×4, first 2 shown]
	v_add_u32_e32 v2, v2, v5
	ds_bpermute_b32 v4, v4, v2
	v_add_u32_e32 v5, 32, v1
	v_cmp_lt_u32_e32 vcc, v5, v3
	s_waitcnt lgkmcnt(0)
	v_cndmask_b32_e32 v3, 0, v4, vcc
	v_add_u32_e32 v2, v2, v3
	v_cmp_eq_u32_e32 vcc, 0, v1
	s_and_saveexec_b64 s[0:1], vcc
	s_cbranch_execz .LBB76_2
; %bb.1:
	v_lshrrev_b32_e32 v3, 4, v0
	v_and_b32_e32 v3, 60, v3
	ds_write_b32 v3, v2
.LBB76_2:
	s_or_b64 exec, exec, s[0:1]
	v_cmp_gt_u32_e32 vcc, 16, v0
	s_waitcnt lgkmcnt(0)
	s_barrier
	s_and_saveexec_b64 s[0:1], vcc
	s_cbranch_execz .LBB76_4
; %bb.3:
	v_lshlrev_b32_e32 v2, 2, v1
	ds_read_b32 v2, v2
	v_and_b32_e32 v3, 15, v1
	v_cmp_ne_u32_e32 vcc, 15, v3
	v_addc_co_u32_e32 v4, vcc, 0, v1, vcc
	v_lshlrev_b32_e32 v4, 2, v4
	s_waitcnt lgkmcnt(0)
	ds_bpermute_b32 v4, v4, v2
	s_add_i32 s7, s7, 63
	s_lshr_b32 s4, s7, 6
	v_add_u32_e32 v5, 1, v3
	v_cmp_gt_u32_e32 vcc, s4, v5
	s_waitcnt lgkmcnt(0)
	v_cndmask_b32_e32 v4, 0, v4, vcc
	v_cmp_gt_u32_e32 vcc, 14, v3
	v_add_u32_e32 v2, v4, v2
	v_cndmask_b32_e64 v4, 0, 1, vcc
	v_lshlrev_b32_e32 v4, 1, v4
	v_add_lshl_u32 v4, v4, v1, 2
	ds_bpermute_b32 v4, v4, v2
	v_add_u32_e32 v5, 2, v3
	v_cmp_gt_u32_e32 vcc, s4, v5
	v_add_u32_e32 v5, 4, v3
	s_waitcnt lgkmcnt(0)
	v_cndmask_b32_e32 v4, 0, v4, vcc
	v_cmp_gt_u32_e32 vcc, 12, v3
	v_add_u32_e32 v2, v2, v4
	v_cndmask_b32_e64 v4, 0, 1, vcc
	v_lshlrev_b32_e32 v4, 2, v4
	v_add_lshl_u32 v4, v4, v1, 2
	ds_bpermute_b32 v4, v4, v2
	v_cmp_gt_u32_e32 vcc, s4, v5
	s_waitcnt lgkmcnt(0)
	v_cndmask_b32_e32 v4, 0, v4, vcc
	v_cmp_gt_u32_e32 vcc, 8, v3
	v_add_u32_e32 v2, v2, v4
	v_cndmask_b32_e64 v4, 0, 1, vcc
	v_lshlrev_b32_e32 v4, 3, v4
	v_add_lshl_u32 v1, v4, v1, 2
	ds_bpermute_b32 v1, v1, v2
	v_add_u32_e32 v3, 8, v3
	v_cmp_gt_u32_e32 vcc, s4, v3
	s_waitcnt lgkmcnt(0)
	v_cndmask_b32_e32 v1, 0, v1, vcc
	v_add_u32_e32 v2, v2, v1
.LBB76_4:
	s_or_b64 exec, exec, s[0:1]
	s_mov_b32 s7, 0
	v_cmp_eq_u32_e32 vcc, 0, v0
	s_and_saveexec_b64 s[0:1], vcc
	s_cbranch_execz .LBB76_6
; %bb.5:
	s_lshl_b64 s[0:1], s[6:7], 2
	s_add_u32 s0, s2, s0
	s_addc_u32 s1, s3, s1
	v_mov_b32_e32 v0, 0
	global_store_dword v0, v2, s[0:1]
.LBB76_6:
	s_endpgm
	.section	.rodata,"a",@progbits
	.p2align	6, 0x0
	.amdhsa_kernel _Z19reduce_valid_kernelILj1024ELN6hipcub20BlockReduceAlgorithmE0EiEvPT1_S3_j
		.amdhsa_group_segment_fixed_size 64
		.amdhsa_private_segment_fixed_size 0
		.amdhsa_kernarg_size 20
		.amdhsa_user_sgpr_count 6
		.amdhsa_user_sgpr_private_segment_buffer 1
		.amdhsa_user_sgpr_dispatch_ptr 0
		.amdhsa_user_sgpr_queue_ptr 0
		.amdhsa_user_sgpr_kernarg_segment_ptr 1
		.amdhsa_user_sgpr_dispatch_id 0
		.amdhsa_user_sgpr_flat_scratch_init 0
		.amdhsa_user_sgpr_kernarg_preload_length 0
		.amdhsa_user_sgpr_kernarg_preload_offset 0
		.amdhsa_user_sgpr_private_segment_size 0
		.amdhsa_uses_dynamic_stack 0
		.amdhsa_system_sgpr_private_segment_wavefront_offset 0
		.amdhsa_system_sgpr_workgroup_id_x 1
		.amdhsa_system_sgpr_workgroup_id_y 0
		.amdhsa_system_sgpr_workgroup_id_z 0
		.amdhsa_system_sgpr_workgroup_info 0
		.amdhsa_system_vgpr_workitem_id 0
		.amdhsa_next_free_vgpr 12
		.amdhsa_next_free_sgpr 8
		.amdhsa_accum_offset 12
		.amdhsa_reserve_vcc 1
		.amdhsa_reserve_flat_scratch 0
		.amdhsa_float_round_mode_32 0
		.amdhsa_float_round_mode_16_64 0
		.amdhsa_float_denorm_mode_32 3
		.amdhsa_float_denorm_mode_16_64 3
		.amdhsa_dx10_clamp 1
		.amdhsa_ieee_mode 1
		.amdhsa_fp16_overflow 0
		.amdhsa_tg_split 0
		.amdhsa_exception_fp_ieee_invalid_op 0
		.amdhsa_exception_fp_denorm_src 0
		.amdhsa_exception_fp_ieee_div_zero 0
		.amdhsa_exception_fp_ieee_overflow 0
		.amdhsa_exception_fp_ieee_underflow 0
		.amdhsa_exception_fp_ieee_inexact 0
		.amdhsa_exception_int_div_zero 0
	.end_amdhsa_kernel
	.section	.text._Z19reduce_valid_kernelILj1024ELN6hipcub20BlockReduceAlgorithmE0EiEvPT1_S3_j,"axG",@progbits,_Z19reduce_valid_kernelILj1024ELN6hipcub20BlockReduceAlgorithmE0EiEvPT1_S3_j,comdat
.Lfunc_end76:
	.size	_Z19reduce_valid_kernelILj1024ELN6hipcub20BlockReduceAlgorithmE0EiEvPT1_S3_j, .Lfunc_end76-_Z19reduce_valid_kernelILj1024ELN6hipcub20BlockReduceAlgorithmE0EiEvPT1_S3_j
                                        ; -- End function
	.section	.AMDGPU.csdata,"",@progbits
; Kernel info:
; codeLenInByte = 724
; NumSgprs: 12
; NumVgprs: 12
; NumAgprs: 0
; TotalNumVgprs: 12
; ScratchSize: 0
; MemoryBound: 0
; FloatMode: 240
; IeeeMode: 1
; LDSByteSize: 64 bytes/workgroup (compile time only)
; SGPRBlocks: 1
; VGPRBlocks: 1
; NumSGPRsForWavesPerEU: 12
; NumVGPRsForWavesPerEU: 12
; AccumOffset: 12
; Occupancy: 8
; WaveLimiterHint : 0
; COMPUTE_PGM_RSRC2:SCRATCH_EN: 0
; COMPUTE_PGM_RSRC2:USER_SGPR: 6
; COMPUTE_PGM_RSRC2:TRAP_HANDLER: 0
; COMPUTE_PGM_RSRC2:TGID_X_EN: 1
; COMPUTE_PGM_RSRC2:TGID_Y_EN: 0
; COMPUTE_PGM_RSRC2:TGID_Z_EN: 0
; COMPUTE_PGM_RSRC2:TIDIG_COMP_CNT: 0
; COMPUTE_PGM_RSRC3_GFX90A:ACCUM_OFFSET: 2
; COMPUTE_PGM_RSRC3_GFX90A:TG_SPLIT: 0
	.section	.text._Z19reduce_valid_kernelILj512ELN6hipcub20BlockReduceAlgorithmE0EiEvPT1_S3_j,"axG",@progbits,_Z19reduce_valid_kernelILj512ELN6hipcub20BlockReduceAlgorithmE0EiEvPT1_S3_j,comdat
	.protected	_Z19reduce_valid_kernelILj512ELN6hipcub20BlockReduceAlgorithmE0EiEvPT1_S3_j ; -- Begin function _Z19reduce_valid_kernelILj512ELN6hipcub20BlockReduceAlgorithmE0EiEvPT1_S3_j
	.globl	_Z19reduce_valid_kernelILj512ELN6hipcub20BlockReduceAlgorithmE0EiEvPT1_S3_j
	.p2align	8
	.type	_Z19reduce_valid_kernelILj512ELN6hipcub20BlockReduceAlgorithmE0EiEvPT1_S3_j,@function
_Z19reduce_valid_kernelILj512ELN6hipcub20BlockReduceAlgorithmE0EiEvPT1_S3_j: ; @_Z19reduce_valid_kernelILj512ELN6hipcub20BlockReduceAlgorithmE0EiEvPT1_S3_j
; %bb.0:
	s_load_dwordx4 s[0:3], s[4:5], 0x0
	s_load_dword s7, s[4:5], 0x10
	v_lshl_or_b32 v2, s6, 9, v0
	v_mov_b32_e32 v3, 0
	v_lshlrev_b64 v[2:3], 2, v[2:3]
	s_waitcnt lgkmcnt(0)
	v_mov_b32_e32 v1, s1
	v_add_co_u32_e32 v2, vcc, s0, v2
	v_addc_co_u32_e32 v3, vcc, v1, v3, vcc
	global_load_dword v2, v[2:3], off
	v_mbcnt_lo_u32_b32 v1, -1, 0
	v_mbcnt_hi_u32_b32 v1, -1, v1
	v_and_b32_e32 v4, 63, v1
	v_cmp_ne_u32_e32 vcc, 63, v4
	v_addc_co_u32_e32 v10, vcc, 0, v1, vcc
	v_lshlrev_b32_e32 v10, 2, v10
	v_and_b32_e32 v3, 0x1c0, v0
	v_add_u32_e32 v5, 1, v1
	v_cmp_gt_u32_e32 vcc, 62, v4
	v_sub_u32_e64 v3, s7, v3 clamp
	v_cndmask_b32_e64 v11, 0, 1, vcc
	v_cmp_lt_u32_e32 vcc, v5, v3
	v_lshlrev_b32_e32 v11, 1, v11
	v_add_lshl_u32 v11, v11, v1, 2
	v_add_u32_e32 v6, 2, v1
	v_add_u32_e32 v7, 4, v1
	;; [unrolled: 1-line block ×4, first 2 shown]
	s_waitcnt vmcnt(0)
	ds_bpermute_b32 v10, v10, v2
	s_waitcnt lgkmcnt(0)
	v_cndmask_b32_e32 v5, 0, v10, vcc
	v_add_u32_e32 v2, v5, v2
	ds_bpermute_b32 v5, v11, v2
	v_cmp_gt_u32_e32 vcc, 60, v4
	v_cndmask_b32_e64 v10, 0, 1, vcc
	v_cmp_lt_u32_e32 vcc, v6, v3
	v_lshlrev_b32_e32 v10, 2, v10
	s_waitcnt lgkmcnt(0)
	v_cndmask_b32_e32 v5, 0, v5, vcc
	v_add_lshl_u32 v10, v10, v1, 2
	v_add_u32_e32 v2, v2, v5
	ds_bpermute_b32 v5, v10, v2
	v_cmp_gt_u32_e32 vcc, 56, v4
	v_cndmask_b32_e64 v6, 0, 1, vcc
	v_cmp_lt_u32_e32 vcc, v7, v3
	v_lshlrev_b32_e32 v6, 3, v6
	s_waitcnt lgkmcnt(0)
	v_cndmask_b32_e32 v5, 0, v5, vcc
	v_add_lshl_u32 v6, v6, v1, 2
	;; [unrolled: 9-line block ×4, first 2 shown]
	v_add_u32_e32 v2, v2, v5
	ds_bpermute_b32 v4, v4, v2
	v_add_u32_e32 v5, 32, v1
	v_cmp_lt_u32_e32 vcc, v5, v3
	s_waitcnt lgkmcnt(0)
	v_cndmask_b32_e32 v3, 0, v4, vcc
	v_add_u32_e32 v2, v2, v3
	v_cmp_eq_u32_e32 vcc, 0, v1
	s_and_saveexec_b64 s[0:1], vcc
	s_cbranch_execz .LBB77_2
; %bb.1:
	v_lshrrev_b32_e32 v3, 4, v0
	v_and_b32_e32 v3, 28, v3
	ds_write_b32 v3, v2
.LBB77_2:
	s_or_b64 exec, exec, s[0:1]
	v_cmp_gt_u32_e32 vcc, 8, v0
	s_waitcnt lgkmcnt(0)
	s_barrier
	s_and_saveexec_b64 s[0:1], vcc
	s_cbranch_execz .LBB77_4
; %bb.3:
	v_lshlrev_b32_e32 v2, 2, v1
	ds_read_b32 v2, v2
	v_and_b32_e32 v3, 7, v1
	v_cmp_ne_u32_e32 vcc, 7, v3
	v_addc_co_u32_e32 v4, vcc, 0, v1, vcc
	v_lshlrev_b32_e32 v4, 2, v4
	s_waitcnt lgkmcnt(0)
	ds_bpermute_b32 v4, v4, v2
	s_add_i32 s7, s7, 63
	s_lshr_b32 s4, s7, 6
	v_add_u32_e32 v5, 1, v3
	v_cmp_gt_u32_e32 vcc, s4, v5
	s_waitcnt lgkmcnt(0)
	v_cndmask_b32_e32 v4, 0, v4, vcc
	v_cmp_gt_u32_e32 vcc, 6, v3
	v_add_u32_e32 v2, v4, v2
	v_cndmask_b32_e64 v4, 0, 1, vcc
	v_lshlrev_b32_e32 v4, 1, v4
	v_add_lshl_u32 v4, v4, v1, 2
	ds_bpermute_b32 v4, v4, v2
	v_add_u32_e32 v5, 2, v3
	v_cmp_gt_u32_e32 vcc, s4, v5
	s_waitcnt lgkmcnt(0)
	v_cndmask_b32_e32 v4, 0, v4, vcc
	v_cmp_gt_u32_e32 vcc, 4, v3
	v_add_u32_e32 v2, v2, v4
	v_cndmask_b32_e64 v4, 0, 1, vcc
	v_lshlrev_b32_e32 v4, 2, v4
	v_add_lshl_u32 v1, v4, v1, 2
	ds_bpermute_b32 v1, v1, v2
	v_add_u32_e32 v3, 4, v3
	v_cmp_gt_u32_e32 vcc, s4, v3
	s_waitcnt lgkmcnt(0)
	v_cndmask_b32_e32 v1, 0, v1, vcc
	v_add_u32_e32 v2, v2, v1
.LBB77_4:
	s_or_b64 exec, exec, s[0:1]
	s_mov_b32 s7, 0
	v_cmp_eq_u32_e32 vcc, 0, v0
	s_and_saveexec_b64 s[0:1], vcc
	s_cbranch_execz .LBB77_6
; %bb.5:
	s_lshl_b64 s[0:1], s[6:7], 2
	s_add_u32 s0, s2, s0
	s_addc_u32 s1, s3, s1
	v_mov_b32_e32 v0, 0
	global_store_dword v0, v2, s[0:1]
.LBB77_6:
	s_endpgm
	.section	.rodata,"a",@progbits
	.p2align	6, 0x0
	.amdhsa_kernel _Z19reduce_valid_kernelILj512ELN6hipcub20BlockReduceAlgorithmE0EiEvPT1_S3_j
		.amdhsa_group_segment_fixed_size 32
		.amdhsa_private_segment_fixed_size 0
		.amdhsa_kernarg_size 20
		.amdhsa_user_sgpr_count 6
		.amdhsa_user_sgpr_private_segment_buffer 1
		.amdhsa_user_sgpr_dispatch_ptr 0
		.amdhsa_user_sgpr_queue_ptr 0
		.amdhsa_user_sgpr_kernarg_segment_ptr 1
		.amdhsa_user_sgpr_dispatch_id 0
		.amdhsa_user_sgpr_flat_scratch_init 0
		.amdhsa_user_sgpr_kernarg_preload_length 0
		.amdhsa_user_sgpr_kernarg_preload_offset 0
		.amdhsa_user_sgpr_private_segment_size 0
		.amdhsa_uses_dynamic_stack 0
		.amdhsa_system_sgpr_private_segment_wavefront_offset 0
		.amdhsa_system_sgpr_workgroup_id_x 1
		.amdhsa_system_sgpr_workgroup_id_y 0
		.amdhsa_system_sgpr_workgroup_id_z 0
		.amdhsa_system_sgpr_workgroup_info 0
		.amdhsa_system_vgpr_workitem_id 0
		.amdhsa_next_free_vgpr 12
		.amdhsa_next_free_sgpr 8
		.amdhsa_accum_offset 12
		.amdhsa_reserve_vcc 1
		.amdhsa_reserve_flat_scratch 0
		.amdhsa_float_round_mode_32 0
		.amdhsa_float_round_mode_16_64 0
		.amdhsa_float_denorm_mode_32 3
		.amdhsa_float_denorm_mode_16_64 3
		.amdhsa_dx10_clamp 1
		.amdhsa_ieee_mode 1
		.amdhsa_fp16_overflow 0
		.amdhsa_tg_split 0
		.amdhsa_exception_fp_ieee_invalid_op 0
		.amdhsa_exception_fp_denorm_src 0
		.amdhsa_exception_fp_ieee_div_zero 0
		.amdhsa_exception_fp_ieee_overflow 0
		.amdhsa_exception_fp_ieee_underflow 0
		.amdhsa_exception_fp_ieee_inexact 0
		.amdhsa_exception_int_div_zero 0
	.end_amdhsa_kernel
	.section	.text._Z19reduce_valid_kernelILj512ELN6hipcub20BlockReduceAlgorithmE0EiEvPT1_S3_j,"axG",@progbits,_Z19reduce_valid_kernelILj512ELN6hipcub20BlockReduceAlgorithmE0EiEvPT1_S3_j,comdat
.Lfunc_end77:
	.size	_Z19reduce_valid_kernelILj512ELN6hipcub20BlockReduceAlgorithmE0EiEvPT1_S3_j, .Lfunc_end77-_Z19reduce_valid_kernelILj512ELN6hipcub20BlockReduceAlgorithmE0EiEvPT1_S3_j
                                        ; -- End function
	.section	.AMDGPU.csdata,"",@progbits
; Kernel info:
; codeLenInByte = 672
; NumSgprs: 12
; NumVgprs: 12
; NumAgprs: 0
; TotalNumVgprs: 12
; ScratchSize: 0
; MemoryBound: 0
; FloatMode: 240
; IeeeMode: 1
; LDSByteSize: 32 bytes/workgroup (compile time only)
; SGPRBlocks: 1
; VGPRBlocks: 1
; NumSGPRsForWavesPerEU: 12
; NumVGPRsForWavesPerEU: 12
; AccumOffset: 12
; Occupancy: 8
; WaveLimiterHint : 0
; COMPUTE_PGM_RSRC2:SCRATCH_EN: 0
; COMPUTE_PGM_RSRC2:USER_SGPR: 6
; COMPUTE_PGM_RSRC2:TRAP_HANDLER: 0
; COMPUTE_PGM_RSRC2:TGID_X_EN: 1
; COMPUTE_PGM_RSRC2:TGID_Y_EN: 0
; COMPUTE_PGM_RSRC2:TGID_Z_EN: 0
; COMPUTE_PGM_RSRC2:TIDIG_COMP_CNT: 0
; COMPUTE_PGM_RSRC3_GFX90A:ACCUM_OFFSET: 2
; COMPUTE_PGM_RSRC3_GFX90A:TG_SPLIT: 0
	.section	.text._Z19reduce_valid_kernelILj256ELN6hipcub20BlockReduceAlgorithmE0EiEvPT1_S3_j,"axG",@progbits,_Z19reduce_valid_kernelILj256ELN6hipcub20BlockReduceAlgorithmE0EiEvPT1_S3_j,comdat
	.protected	_Z19reduce_valid_kernelILj256ELN6hipcub20BlockReduceAlgorithmE0EiEvPT1_S3_j ; -- Begin function _Z19reduce_valid_kernelILj256ELN6hipcub20BlockReduceAlgorithmE0EiEvPT1_S3_j
	.globl	_Z19reduce_valid_kernelILj256ELN6hipcub20BlockReduceAlgorithmE0EiEvPT1_S3_j
	.p2align	8
	.type	_Z19reduce_valid_kernelILj256ELN6hipcub20BlockReduceAlgorithmE0EiEvPT1_S3_j,@function
_Z19reduce_valid_kernelILj256ELN6hipcub20BlockReduceAlgorithmE0EiEvPT1_S3_j: ; @_Z19reduce_valid_kernelILj256ELN6hipcub20BlockReduceAlgorithmE0EiEvPT1_S3_j
; %bb.0:
	s_load_dwordx4 s[0:3], s[4:5], 0x0
	s_load_dword s7, s[4:5], 0x10
	v_lshl_or_b32 v2, s6, 8, v0
	v_mov_b32_e32 v3, 0
	v_lshlrev_b64 v[2:3], 2, v[2:3]
	s_waitcnt lgkmcnt(0)
	v_mov_b32_e32 v1, s1
	v_add_co_u32_e32 v2, vcc, s0, v2
	v_addc_co_u32_e32 v3, vcc, v1, v3, vcc
	global_load_dword v2, v[2:3], off
	v_mbcnt_lo_u32_b32 v1, -1, 0
	v_mbcnt_hi_u32_b32 v1, -1, v1
	v_and_b32_e32 v4, 63, v1
	v_cmp_ne_u32_e32 vcc, 63, v4
	v_addc_co_u32_e32 v10, vcc, 0, v1, vcc
	v_lshlrev_b32_e32 v10, 2, v10
	v_and_b32_e32 v3, 0xc0, v0
	v_add_u32_e32 v5, 1, v1
	v_cmp_gt_u32_e32 vcc, 62, v4
	v_sub_u32_e64 v3, s7, v3 clamp
	v_cndmask_b32_e64 v11, 0, 1, vcc
	v_cmp_lt_u32_e32 vcc, v5, v3
	v_lshlrev_b32_e32 v11, 1, v11
	v_add_lshl_u32 v11, v11, v1, 2
	v_add_u32_e32 v6, 2, v1
	v_add_u32_e32 v7, 4, v1
	;; [unrolled: 1-line block ×4, first 2 shown]
	s_waitcnt vmcnt(0)
	ds_bpermute_b32 v10, v10, v2
	s_waitcnt lgkmcnt(0)
	v_cndmask_b32_e32 v5, 0, v10, vcc
	v_add_u32_e32 v2, v5, v2
	ds_bpermute_b32 v5, v11, v2
	v_cmp_gt_u32_e32 vcc, 60, v4
	v_cndmask_b32_e64 v10, 0, 1, vcc
	v_cmp_lt_u32_e32 vcc, v6, v3
	v_lshlrev_b32_e32 v10, 2, v10
	s_waitcnt lgkmcnt(0)
	v_cndmask_b32_e32 v5, 0, v5, vcc
	v_add_lshl_u32 v10, v10, v1, 2
	v_add_u32_e32 v2, v2, v5
	ds_bpermute_b32 v5, v10, v2
	v_cmp_gt_u32_e32 vcc, 56, v4
	v_cndmask_b32_e64 v6, 0, 1, vcc
	v_cmp_lt_u32_e32 vcc, v7, v3
	v_lshlrev_b32_e32 v6, 3, v6
	s_waitcnt lgkmcnt(0)
	v_cndmask_b32_e32 v5, 0, v5, vcc
	v_add_lshl_u32 v6, v6, v1, 2
	;; [unrolled: 9-line block ×4, first 2 shown]
	v_add_u32_e32 v2, v2, v5
	ds_bpermute_b32 v4, v4, v2
	v_add_u32_e32 v5, 32, v1
	v_cmp_lt_u32_e32 vcc, v5, v3
	s_waitcnt lgkmcnt(0)
	v_cndmask_b32_e32 v3, 0, v4, vcc
	v_add_u32_e32 v2, v2, v3
	v_cmp_eq_u32_e32 vcc, 0, v1
	s_and_saveexec_b64 s[0:1], vcc
	s_cbranch_execz .LBB78_2
; %bb.1:
	v_lshrrev_b32_e32 v3, 4, v0
	v_and_b32_e32 v3, 12, v3
	ds_write_b32 v3, v2
.LBB78_2:
	s_or_b64 exec, exec, s[0:1]
	v_cmp_gt_u32_e32 vcc, 4, v0
	s_waitcnt lgkmcnt(0)
	s_barrier
	s_and_saveexec_b64 s[0:1], vcc
	s_cbranch_execz .LBB78_4
; %bb.3:
	v_lshlrev_b32_e32 v2, 2, v1
	ds_read_b32 v2, v2
	v_and_b32_e32 v3, 3, v1
	v_cmp_ne_u32_e32 vcc, 3, v3
	v_addc_co_u32_e32 v4, vcc, 0, v1, vcc
	v_lshlrev_b32_e32 v4, 2, v4
	s_waitcnt lgkmcnt(0)
	ds_bpermute_b32 v4, v4, v2
	s_add_i32 s7, s7, 63
	s_lshr_b32 s4, s7, 6
	v_add_u32_e32 v5, 1, v3
	v_cmp_gt_u32_e32 vcc, s4, v5
	s_waitcnt lgkmcnt(0)
	v_cndmask_b32_e32 v4, 0, v4, vcc
	v_cmp_gt_u32_e32 vcc, 2, v3
	v_add_u32_e32 v2, v4, v2
	v_cndmask_b32_e64 v4, 0, 1, vcc
	v_lshlrev_b32_e32 v4, 1, v4
	v_add_lshl_u32 v1, v4, v1, 2
	ds_bpermute_b32 v1, v1, v2
	v_add_u32_e32 v3, 2, v3
	v_cmp_gt_u32_e32 vcc, s4, v3
	s_waitcnt lgkmcnt(0)
	v_cndmask_b32_e32 v1, 0, v1, vcc
	v_add_u32_e32 v2, v2, v1
.LBB78_4:
	s_or_b64 exec, exec, s[0:1]
	s_mov_b32 s7, 0
	v_cmp_eq_u32_e32 vcc, 0, v0
	s_and_saveexec_b64 s[0:1], vcc
	s_cbranch_execz .LBB78_6
; %bb.5:
	s_lshl_b64 s[0:1], s[6:7], 2
	s_add_u32 s0, s2, s0
	s_addc_u32 s1, s3, s1
	v_mov_b32_e32 v0, 0
	global_store_dword v0, v2, s[0:1]
.LBB78_6:
	s_endpgm
	.section	.rodata,"a",@progbits
	.p2align	6, 0x0
	.amdhsa_kernel _Z19reduce_valid_kernelILj256ELN6hipcub20BlockReduceAlgorithmE0EiEvPT1_S3_j
		.amdhsa_group_segment_fixed_size 16
		.amdhsa_private_segment_fixed_size 0
		.amdhsa_kernarg_size 20
		.amdhsa_user_sgpr_count 6
		.amdhsa_user_sgpr_private_segment_buffer 1
		.amdhsa_user_sgpr_dispatch_ptr 0
		.amdhsa_user_sgpr_queue_ptr 0
		.amdhsa_user_sgpr_kernarg_segment_ptr 1
		.amdhsa_user_sgpr_dispatch_id 0
		.amdhsa_user_sgpr_flat_scratch_init 0
		.amdhsa_user_sgpr_kernarg_preload_length 0
		.amdhsa_user_sgpr_kernarg_preload_offset 0
		.amdhsa_user_sgpr_private_segment_size 0
		.amdhsa_uses_dynamic_stack 0
		.amdhsa_system_sgpr_private_segment_wavefront_offset 0
		.amdhsa_system_sgpr_workgroup_id_x 1
		.amdhsa_system_sgpr_workgroup_id_y 0
		.amdhsa_system_sgpr_workgroup_id_z 0
		.amdhsa_system_sgpr_workgroup_info 0
		.amdhsa_system_vgpr_workitem_id 0
		.amdhsa_next_free_vgpr 12
		.amdhsa_next_free_sgpr 8
		.amdhsa_accum_offset 12
		.amdhsa_reserve_vcc 1
		.amdhsa_reserve_flat_scratch 0
		.amdhsa_float_round_mode_32 0
		.amdhsa_float_round_mode_16_64 0
		.amdhsa_float_denorm_mode_32 3
		.amdhsa_float_denorm_mode_16_64 3
		.amdhsa_dx10_clamp 1
		.amdhsa_ieee_mode 1
		.amdhsa_fp16_overflow 0
		.amdhsa_tg_split 0
		.amdhsa_exception_fp_ieee_invalid_op 0
		.amdhsa_exception_fp_denorm_src 0
		.amdhsa_exception_fp_ieee_div_zero 0
		.amdhsa_exception_fp_ieee_overflow 0
		.amdhsa_exception_fp_ieee_underflow 0
		.amdhsa_exception_fp_ieee_inexact 0
		.amdhsa_exception_int_div_zero 0
	.end_amdhsa_kernel
	.section	.text._Z19reduce_valid_kernelILj256ELN6hipcub20BlockReduceAlgorithmE0EiEvPT1_S3_j,"axG",@progbits,_Z19reduce_valid_kernelILj256ELN6hipcub20BlockReduceAlgorithmE0EiEvPT1_S3_j,comdat
.Lfunc_end78:
	.size	_Z19reduce_valid_kernelILj256ELN6hipcub20BlockReduceAlgorithmE0EiEvPT1_S3_j, .Lfunc_end78-_Z19reduce_valid_kernelILj256ELN6hipcub20BlockReduceAlgorithmE0EiEvPT1_S3_j
                                        ; -- End function
	.section	.AMDGPU.csdata,"",@progbits
; Kernel info:
; codeLenInByte = 620
; NumSgprs: 12
; NumVgprs: 12
; NumAgprs: 0
; TotalNumVgprs: 12
; ScratchSize: 0
; MemoryBound: 0
; FloatMode: 240
; IeeeMode: 1
; LDSByteSize: 16 bytes/workgroup (compile time only)
; SGPRBlocks: 1
; VGPRBlocks: 1
; NumSGPRsForWavesPerEU: 12
; NumVGPRsForWavesPerEU: 12
; AccumOffset: 12
; Occupancy: 8
; WaveLimiterHint : 0
; COMPUTE_PGM_RSRC2:SCRATCH_EN: 0
; COMPUTE_PGM_RSRC2:USER_SGPR: 6
; COMPUTE_PGM_RSRC2:TRAP_HANDLER: 0
; COMPUTE_PGM_RSRC2:TGID_X_EN: 1
; COMPUTE_PGM_RSRC2:TGID_Y_EN: 0
; COMPUTE_PGM_RSRC2:TGID_Z_EN: 0
; COMPUTE_PGM_RSRC2:TIDIG_COMP_CNT: 0
; COMPUTE_PGM_RSRC3_GFX90A:ACCUM_OFFSET: 2
; COMPUTE_PGM_RSRC3_GFX90A:TG_SPLIT: 0
	.section	.text._Z19reduce_valid_kernelILj192ELN6hipcub20BlockReduceAlgorithmE0EiEvPT1_S3_j,"axG",@progbits,_Z19reduce_valid_kernelILj192ELN6hipcub20BlockReduceAlgorithmE0EiEvPT1_S3_j,comdat
	.protected	_Z19reduce_valid_kernelILj192ELN6hipcub20BlockReduceAlgorithmE0EiEvPT1_S3_j ; -- Begin function _Z19reduce_valid_kernelILj192ELN6hipcub20BlockReduceAlgorithmE0EiEvPT1_S3_j
	.globl	_Z19reduce_valid_kernelILj192ELN6hipcub20BlockReduceAlgorithmE0EiEvPT1_S3_j
	.p2align	8
	.type	_Z19reduce_valid_kernelILj192ELN6hipcub20BlockReduceAlgorithmE0EiEvPT1_S3_j,@function
_Z19reduce_valid_kernelILj192ELN6hipcub20BlockReduceAlgorithmE0EiEvPT1_S3_j: ; @_Z19reduce_valid_kernelILj192ELN6hipcub20BlockReduceAlgorithmE0EiEvPT1_S3_j
; %bb.0:
	s_load_dwordx4 s[0:3], s[4:5], 0x0
	s_load_dword s7, s[4:5], 0x10
	s_mul_i32 s4, s6, 0xc0
	v_add_u32_e32 v2, s4, v0
	v_mov_b32_e32 v3, 0
	v_lshlrev_b64 v[2:3], 2, v[2:3]
	s_waitcnt lgkmcnt(0)
	v_mov_b32_e32 v1, s1
	v_add_co_u32_e32 v2, vcc, s0, v2
	v_addc_co_u32_e32 v3, vcc, v1, v3, vcc
	global_load_dword v2, v[2:3], off
	v_mbcnt_lo_u32_b32 v1, -1, 0
	v_mbcnt_hi_u32_b32 v1, -1, v1
	v_and_b32_e32 v4, 63, v1
	v_cmp_ne_u32_e32 vcc, 63, v4
	v_addc_co_u32_e32 v10, vcc, 0, v1, vcc
	v_lshlrev_b32_e32 v10, 2, v10
	v_and_b32_e32 v3, 0xc0, v0
	v_add_u32_e32 v5, 1, v1
	v_cmp_gt_u32_e32 vcc, 62, v4
	v_sub_u32_e64 v3, s7, v3 clamp
	v_cndmask_b32_e64 v11, 0, 1, vcc
	v_cmp_lt_u32_e32 vcc, v5, v3
	v_lshlrev_b32_e32 v11, 1, v11
	v_add_lshl_u32 v11, v11, v1, 2
	v_add_u32_e32 v6, 2, v1
	v_add_u32_e32 v7, 4, v1
	v_add_u32_e32 v8, 8, v1
	v_add_u32_e32 v9, 16, v1
	s_waitcnt vmcnt(0)
	ds_bpermute_b32 v10, v10, v2
	s_waitcnt lgkmcnt(0)
	v_cndmask_b32_e32 v5, 0, v10, vcc
	v_add_u32_e32 v2, v5, v2
	ds_bpermute_b32 v5, v11, v2
	v_cmp_gt_u32_e32 vcc, 60, v4
	v_cndmask_b32_e64 v10, 0, 1, vcc
	v_cmp_lt_u32_e32 vcc, v6, v3
	v_lshlrev_b32_e32 v10, 2, v10
	s_waitcnt lgkmcnt(0)
	v_cndmask_b32_e32 v5, 0, v5, vcc
	v_add_lshl_u32 v10, v10, v1, 2
	v_add_u32_e32 v2, v2, v5
	ds_bpermute_b32 v5, v10, v2
	v_cmp_gt_u32_e32 vcc, 56, v4
	v_cndmask_b32_e64 v6, 0, 1, vcc
	v_cmp_lt_u32_e32 vcc, v7, v3
	v_lshlrev_b32_e32 v6, 3, v6
	s_waitcnt lgkmcnt(0)
	v_cndmask_b32_e32 v5, 0, v5, vcc
	v_add_lshl_u32 v6, v6, v1, 2
	;; [unrolled: 9-line block ×4, first 2 shown]
	v_add_u32_e32 v2, v2, v5
	ds_bpermute_b32 v4, v4, v2
	v_add_u32_e32 v5, 32, v1
	v_cmp_lt_u32_e32 vcc, v5, v3
	s_waitcnt lgkmcnt(0)
	v_cndmask_b32_e32 v3, 0, v4, vcc
	v_add_u32_e32 v2, v2, v3
	v_cmp_eq_u32_e32 vcc, 0, v1
	s_and_saveexec_b64 s[0:1], vcc
	s_cbranch_execz .LBB79_2
; %bb.1:
	v_lshrrev_b32_e32 v3, 4, v0
	v_and_b32_e32 v3, 12, v3
	ds_write_b32 v3, v2
.LBB79_2:
	s_or_b64 exec, exec, s[0:1]
	v_cmp_gt_u32_e32 vcc, 3, v0
	s_waitcnt lgkmcnt(0)
	s_barrier
	s_and_saveexec_b64 s[0:1], vcc
	s_cbranch_execz .LBB79_4
; %bb.3:
	v_lshlrev_b32_e32 v2, 2, v1
	ds_read_b32 v2, v2
	v_and_b32_e32 v3, 3, v1
	v_cmp_ne_u32_e32 vcc, 3, v3
	v_addc_co_u32_e32 v4, vcc, 0, v1, vcc
	v_lshlrev_b32_e32 v4, 2, v4
	s_waitcnt lgkmcnt(0)
	ds_bpermute_b32 v4, v4, v2
	s_add_i32 s7, s7, 63
	s_lshr_b32 s4, s7, 6
	v_add_u32_e32 v5, 1, v3
	v_cmp_gt_u32_e32 vcc, s4, v5
	s_waitcnt lgkmcnt(0)
	v_cndmask_b32_e32 v4, 0, v4, vcc
	v_cmp_gt_u32_e32 vcc, 2, v3
	v_add_u32_e32 v2, v4, v2
	v_cndmask_b32_e64 v4, 0, 1, vcc
	v_lshlrev_b32_e32 v4, 1, v4
	v_add_lshl_u32 v1, v4, v1, 2
	ds_bpermute_b32 v1, v1, v2
	v_add_u32_e32 v3, 2, v3
	v_cmp_gt_u32_e32 vcc, s4, v3
	s_waitcnt lgkmcnt(0)
	v_cndmask_b32_e32 v1, 0, v1, vcc
	v_add_u32_e32 v2, v2, v1
.LBB79_4:
	s_or_b64 exec, exec, s[0:1]
	s_mov_b32 s7, 0
	v_cmp_eq_u32_e32 vcc, 0, v0
	s_and_saveexec_b64 s[0:1], vcc
	s_cbranch_execz .LBB79_6
; %bb.5:
	s_lshl_b64 s[0:1], s[6:7], 2
	s_add_u32 s0, s2, s0
	s_addc_u32 s1, s3, s1
	v_mov_b32_e32 v0, 0
	global_store_dword v0, v2, s[0:1]
.LBB79_6:
	s_endpgm
	.section	.rodata,"a",@progbits
	.p2align	6, 0x0
	.amdhsa_kernel _Z19reduce_valid_kernelILj192ELN6hipcub20BlockReduceAlgorithmE0EiEvPT1_S3_j
		.amdhsa_group_segment_fixed_size 12
		.amdhsa_private_segment_fixed_size 0
		.amdhsa_kernarg_size 20
		.amdhsa_user_sgpr_count 6
		.amdhsa_user_sgpr_private_segment_buffer 1
		.amdhsa_user_sgpr_dispatch_ptr 0
		.amdhsa_user_sgpr_queue_ptr 0
		.amdhsa_user_sgpr_kernarg_segment_ptr 1
		.amdhsa_user_sgpr_dispatch_id 0
		.amdhsa_user_sgpr_flat_scratch_init 0
		.amdhsa_user_sgpr_kernarg_preload_length 0
		.amdhsa_user_sgpr_kernarg_preload_offset 0
		.amdhsa_user_sgpr_private_segment_size 0
		.amdhsa_uses_dynamic_stack 0
		.amdhsa_system_sgpr_private_segment_wavefront_offset 0
		.amdhsa_system_sgpr_workgroup_id_x 1
		.amdhsa_system_sgpr_workgroup_id_y 0
		.amdhsa_system_sgpr_workgroup_id_z 0
		.amdhsa_system_sgpr_workgroup_info 0
		.amdhsa_system_vgpr_workitem_id 0
		.amdhsa_next_free_vgpr 12
		.amdhsa_next_free_sgpr 8
		.amdhsa_accum_offset 12
		.amdhsa_reserve_vcc 1
		.amdhsa_reserve_flat_scratch 0
		.amdhsa_float_round_mode_32 0
		.amdhsa_float_round_mode_16_64 0
		.amdhsa_float_denorm_mode_32 3
		.amdhsa_float_denorm_mode_16_64 3
		.amdhsa_dx10_clamp 1
		.amdhsa_ieee_mode 1
		.amdhsa_fp16_overflow 0
		.amdhsa_tg_split 0
		.amdhsa_exception_fp_ieee_invalid_op 0
		.amdhsa_exception_fp_denorm_src 0
		.amdhsa_exception_fp_ieee_div_zero 0
		.amdhsa_exception_fp_ieee_overflow 0
		.amdhsa_exception_fp_ieee_underflow 0
		.amdhsa_exception_fp_ieee_inexact 0
		.amdhsa_exception_int_div_zero 0
	.end_amdhsa_kernel
	.section	.text._Z19reduce_valid_kernelILj192ELN6hipcub20BlockReduceAlgorithmE0EiEvPT1_S3_j,"axG",@progbits,_Z19reduce_valid_kernelILj192ELN6hipcub20BlockReduceAlgorithmE0EiEvPT1_S3_j,comdat
.Lfunc_end79:
	.size	_Z19reduce_valid_kernelILj192ELN6hipcub20BlockReduceAlgorithmE0EiEvPT1_S3_j, .Lfunc_end79-_Z19reduce_valid_kernelILj192ELN6hipcub20BlockReduceAlgorithmE0EiEvPT1_S3_j
                                        ; -- End function
	.section	.AMDGPU.csdata,"",@progbits
; Kernel info:
; codeLenInByte = 624
; NumSgprs: 12
; NumVgprs: 12
; NumAgprs: 0
; TotalNumVgprs: 12
; ScratchSize: 0
; MemoryBound: 0
; FloatMode: 240
; IeeeMode: 1
; LDSByteSize: 12 bytes/workgroup (compile time only)
; SGPRBlocks: 1
; VGPRBlocks: 1
; NumSGPRsForWavesPerEU: 12
; NumVGPRsForWavesPerEU: 12
; AccumOffset: 12
; Occupancy: 8
; WaveLimiterHint : 0
; COMPUTE_PGM_RSRC2:SCRATCH_EN: 0
; COMPUTE_PGM_RSRC2:USER_SGPR: 6
; COMPUTE_PGM_RSRC2:TRAP_HANDLER: 0
; COMPUTE_PGM_RSRC2:TGID_X_EN: 1
; COMPUTE_PGM_RSRC2:TGID_Y_EN: 0
; COMPUTE_PGM_RSRC2:TGID_Z_EN: 0
; COMPUTE_PGM_RSRC2:TIDIG_COMP_CNT: 0
; COMPUTE_PGM_RSRC3_GFX90A:ACCUM_OFFSET: 2
; COMPUTE_PGM_RSRC3_GFX90A:TG_SPLIT: 0
	.section	.text._Z19reduce_valid_kernelILj128ELN6hipcub20BlockReduceAlgorithmE0EiEvPT1_S3_j,"axG",@progbits,_Z19reduce_valid_kernelILj128ELN6hipcub20BlockReduceAlgorithmE0EiEvPT1_S3_j,comdat
	.protected	_Z19reduce_valid_kernelILj128ELN6hipcub20BlockReduceAlgorithmE0EiEvPT1_S3_j ; -- Begin function _Z19reduce_valid_kernelILj128ELN6hipcub20BlockReduceAlgorithmE0EiEvPT1_S3_j
	.globl	_Z19reduce_valid_kernelILj128ELN6hipcub20BlockReduceAlgorithmE0EiEvPT1_S3_j
	.p2align	8
	.type	_Z19reduce_valid_kernelILj128ELN6hipcub20BlockReduceAlgorithmE0EiEvPT1_S3_j,@function
_Z19reduce_valid_kernelILj128ELN6hipcub20BlockReduceAlgorithmE0EiEvPT1_S3_j: ; @_Z19reduce_valid_kernelILj128ELN6hipcub20BlockReduceAlgorithmE0EiEvPT1_S3_j
; %bb.0:
	s_load_dwordx4 s[0:3], s[4:5], 0x0
	s_load_dword s7, s[4:5], 0x10
	v_lshl_or_b32 v2, s6, 7, v0
	v_mov_b32_e32 v3, 0
	v_lshlrev_b64 v[2:3], 2, v[2:3]
	s_waitcnt lgkmcnt(0)
	v_mov_b32_e32 v1, s1
	v_add_co_u32_e32 v2, vcc, s0, v2
	v_addc_co_u32_e32 v3, vcc, v1, v3, vcc
	global_load_dword v2, v[2:3], off
	v_mbcnt_lo_u32_b32 v1, -1, 0
	v_mbcnt_hi_u32_b32 v1, -1, v1
	v_and_b32_e32 v4, 63, v1
	v_cmp_ne_u32_e32 vcc, 63, v4
	v_addc_co_u32_e32 v10, vcc, 0, v1, vcc
	v_lshlrev_b32_e32 v10, 2, v10
	v_and_b32_e32 v3, 64, v0
	v_add_u32_e32 v5, 1, v1
	v_cmp_gt_u32_e32 vcc, 62, v4
	v_sub_u32_e64 v3, s7, v3 clamp
	v_cndmask_b32_e64 v11, 0, 1, vcc
	v_cmp_lt_u32_e32 vcc, v5, v3
	v_lshlrev_b32_e32 v11, 1, v11
	v_add_lshl_u32 v11, v11, v1, 2
	v_add_u32_e32 v6, 2, v1
	v_add_u32_e32 v7, 4, v1
	;; [unrolled: 1-line block ×4, first 2 shown]
	s_waitcnt vmcnt(0)
	ds_bpermute_b32 v10, v10, v2
	s_waitcnt lgkmcnt(0)
	v_cndmask_b32_e32 v5, 0, v10, vcc
	v_add_u32_e32 v2, v5, v2
	ds_bpermute_b32 v5, v11, v2
	v_cmp_gt_u32_e32 vcc, 60, v4
	v_cndmask_b32_e64 v10, 0, 1, vcc
	v_cmp_lt_u32_e32 vcc, v6, v3
	v_lshlrev_b32_e32 v10, 2, v10
	s_waitcnt lgkmcnt(0)
	v_cndmask_b32_e32 v5, 0, v5, vcc
	v_add_lshl_u32 v10, v10, v1, 2
	v_add_u32_e32 v2, v2, v5
	ds_bpermute_b32 v5, v10, v2
	v_cmp_gt_u32_e32 vcc, 56, v4
	v_cndmask_b32_e64 v6, 0, 1, vcc
	v_cmp_lt_u32_e32 vcc, v7, v3
	v_lshlrev_b32_e32 v6, 3, v6
	s_waitcnt lgkmcnt(0)
	v_cndmask_b32_e32 v5, 0, v5, vcc
	v_add_lshl_u32 v6, v6, v1, 2
	;; [unrolled: 9-line block ×4, first 2 shown]
	v_add_u32_e32 v2, v2, v5
	ds_bpermute_b32 v4, v4, v2
	v_add_u32_e32 v5, 32, v1
	v_cmp_lt_u32_e32 vcc, v5, v3
	s_waitcnt lgkmcnt(0)
	v_cndmask_b32_e32 v3, 0, v4, vcc
	v_add_u32_e32 v2, v2, v3
	v_cmp_eq_u32_e32 vcc, 0, v1
	s_and_saveexec_b64 s[0:1], vcc
	s_cbranch_execz .LBB80_2
; %bb.1:
	v_lshrrev_b32_e32 v3, 4, v0
	v_and_b32_e32 v3, 4, v3
	ds_write_b32 v3, v2
.LBB80_2:
	s_or_b64 exec, exec, s[0:1]
	v_cmp_gt_u32_e32 vcc, 2, v0
	s_waitcnt lgkmcnt(0)
	s_barrier
	s_and_saveexec_b64 s[0:1], vcc
	s_cbranch_execz .LBB80_4
; %bb.3:
	v_lshlrev_b32_e32 v2, 2, v1
	ds_read_b32 v3, v2
	v_or_b32_e32 v2, 4, v2
	s_add_i32 s7, s7, 63
	v_and_b32_e32 v1, 1, v1
	s_lshr_b32 s4, s7, 6
	s_waitcnt lgkmcnt(0)
	ds_bpermute_b32 v2, v2, v3
	v_add_u32_e32 v1, 1, v1
	v_cmp_gt_u32_e32 vcc, s4, v1
	s_waitcnt lgkmcnt(0)
	v_cndmask_b32_e32 v1, 0, v2, vcc
	v_add_u32_e32 v2, v1, v3
.LBB80_4:
	s_or_b64 exec, exec, s[0:1]
	s_mov_b32 s7, 0
	v_cmp_eq_u32_e32 vcc, 0, v0
	s_and_saveexec_b64 s[0:1], vcc
	s_cbranch_execz .LBB80_6
; %bb.5:
	s_lshl_b64 s[0:1], s[6:7], 2
	s_add_u32 s0, s2, s0
	s_addc_u32 s1, s3, s1
	v_mov_b32_e32 v0, 0
	global_store_dword v0, v2, s[0:1]
.LBB80_6:
	s_endpgm
	.section	.rodata,"a",@progbits
	.p2align	6, 0x0
	.amdhsa_kernel _Z19reduce_valid_kernelILj128ELN6hipcub20BlockReduceAlgorithmE0EiEvPT1_S3_j
		.amdhsa_group_segment_fixed_size 8
		.amdhsa_private_segment_fixed_size 0
		.amdhsa_kernarg_size 20
		.amdhsa_user_sgpr_count 6
		.amdhsa_user_sgpr_private_segment_buffer 1
		.amdhsa_user_sgpr_dispatch_ptr 0
		.amdhsa_user_sgpr_queue_ptr 0
		.amdhsa_user_sgpr_kernarg_segment_ptr 1
		.amdhsa_user_sgpr_dispatch_id 0
		.amdhsa_user_sgpr_flat_scratch_init 0
		.amdhsa_user_sgpr_kernarg_preload_length 0
		.amdhsa_user_sgpr_kernarg_preload_offset 0
		.amdhsa_user_sgpr_private_segment_size 0
		.amdhsa_uses_dynamic_stack 0
		.amdhsa_system_sgpr_private_segment_wavefront_offset 0
		.amdhsa_system_sgpr_workgroup_id_x 1
		.amdhsa_system_sgpr_workgroup_id_y 0
		.amdhsa_system_sgpr_workgroup_id_z 0
		.amdhsa_system_sgpr_workgroup_info 0
		.amdhsa_system_vgpr_workitem_id 0
		.amdhsa_next_free_vgpr 12
		.amdhsa_next_free_sgpr 8
		.amdhsa_accum_offset 12
		.amdhsa_reserve_vcc 1
		.amdhsa_reserve_flat_scratch 0
		.amdhsa_float_round_mode_32 0
		.amdhsa_float_round_mode_16_64 0
		.amdhsa_float_denorm_mode_32 3
		.amdhsa_float_denorm_mode_16_64 3
		.amdhsa_dx10_clamp 1
		.amdhsa_ieee_mode 1
		.amdhsa_fp16_overflow 0
		.amdhsa_tg_split 0
		.amdhsa_exception_fp_ieee_invalid_op 0
		.amdhsa_exception_fp_denorm_src 0
		.amdhsa_exception_fp_ieee_div_zero 0
		.amdhsa_exception_fp_ieee_overflow 0
		.amdhsa_exception_fp_ieee_underflow 0
		.amdhsa_exception_fp_ieee_inexact 0
		.amdhsa_exception_int_div_zero 0
	.end_amdhsa_kernel
	.section	.text._Z19reduce_valid_kernelILj128ELN6hipcub20BlockReduceAlgorithmE0EiEvPT1_S3_j,"axG",@progbits,_Z19reduce_valid_kernelILj128ELN6hipcub20BlockReduceAlgorithmE0EiEvPT1_S3_j,comdat
.Lfunc_end80:
	.size	_Z19reduce_valid_kernelILj128ELN6hipcub20BlockReduceAlgorithmE0EiEvPT1_S3_j, .Lfunc_end80-_Z19reduce_valid_kernelILj128ELN6hipcub20BlockReduceAlgorithmE0EiEvPT1_S3_j
                                        ; -- End function
	.section	.AMDGPU.csdata,"",@progbits
; Kernel info:
; codeLenInByte = 556
; NumSgprs: 12
; NumVgprs: 12
; NumAgprs: 0
; TotalNumVgprs: 12
; ScratchSize: 0
; MemoryBound: 0
; FloatMode: 240
; IeeeMode: 1
; LDSByteSize: 8 bytes/workgroup (compile time only)
; SGPRBlocks: 1
; VGPRBlocks: 1
; NumSGPRsForWavesPerEU: 12
; NumVGPRsForWavesPerEU: 12
; AccumOffset: 12
; Occupancy: 8
; WaveLimiterHint : 0
; COMPUTE_PGM_RSRC2:SCRATCH_EN: 0
; COMPUTE_PGM_RSRC2:USER_SGPR: 6
; COMPUTE_PGM_RSRC2:TRAP_HANDLER: 0
; COMPUTE_PGM_RSRC2:TGID_X_EN: 1
; COMPUTE_PGM_RSRC2:TGID_Y_EN: 0
; COMPUTE_PGM_RSRC2:TGID_Z_EN: 0
; COMPUTE_PGM_RSRC2:TIDIG_COMP_CNT: 0
; COMPUTE_PGM_RSRC3_GFX90A:ACCUM_OFFSET: 2
; COMPUTE_PGM_RSRC3_GFX90A:TG_SPLIT: 0
	.section	.text._Z19reduce_valid_kernelILj64ELN6hipcub20BlockReduceAlgorithmE0EiEvPT1_S3_j,"axG",@progbits,_Z19reduce_valid_kernelILj64ELN6hipcub20BlockReduceAlgorithmE0EiEvPT1_S3_j,comdat
	.protected	_Z19reduce_valid_kernelILj64ELN6hipcub20BlockReduceAlgorithmE0EiEvPT1_S3_j ; -- Begin function _Z19reduce_valid_kernelILj64ELN6hipcub20BlockReduceAlgorithmE0EiEvPT1_S3_j
	.globl	_Z19reduce_valid_kernelILj64ELN6hipcub20BlockReduceAlgorithmE0EiEvPT1_S3_j
	.p2align	8
	.type	_Z19reduce_valid_kernelILj64ELN6hipcub20BlockReduceAlgorithmE0EiEvPT1_S3_j,@function
_Z19reduce_valid_kernelILj64ELN6hipcub20BlockReduceAlgorithmE0EiEvPT1_S3_j: ; @_Z19reduce_valid_kernelILj64ELN6hipcub20BlockReduceAlgorithmE0EiEvPT1_S3_j
; %bb.0:
	s_load_dwordx4 s[0:3], s[4:5], 0x0
	s_load_dword s8, s[4:5], 0x10
	v_lshl_or_b32 v2, s6, 6, v0
	v_mov_b32_e32 v3, 0
	v_lshlrev_b64 v[4:5], 2, v[2:3]
	s_waitcnt lgkmcnt(0)
	v_mov_b32_e32 v1, s1
	v_add_co_u32_e32 v4, vcc, s0, v4
	v_addc_co_u32_e32 v5, vcc, v1, v5, vcc
	global_load_dword v2, v[4:5], off
	v_mbcnt_lo_u32_b32 v1, -1, 0
	v_mbcnt_hi_u32_b32 v1, -1, v1
	v_and_b32_e32 v4, 63, v1
	v_cmp_ne_u32_e32 vcc, 63, v4
	v_addc_co_u32_e32 v10, vcc, 0, v1, vcc
	v_lshlrev_b32_e32 v10, 2, v10
	v_add_u32_e32 v5, 1, v1
	v_cmp_gt_u32_e32 vcc, 62, v4
	v_cndmask_b32_e64 v11, 0, 1, vcc
	v_cmp_gt_u32_e32 vcc, s8, v5
	v_lshlrev_b32_e32 v11, 1, v11
	v_add_lshl_u32 v11, v11, v1, 2
	v_add_u32_e32 v6, 2, v1
	v_add_u32_e32 v7, 4, v1
	;; [unrolled: 1-line block ×4, first 2 shown]
	s_mov_b32 s7, 0
	s_waitcnt vmcnt(0)
	ds_bpermute_b32 v10, v10, v2
	s_waitcnt lgkmcnt(0)
	v_cndmask_b32_e32 v5, 0, v10, vcc
	v_add_u32_e32 v2, v5, v2
	ds_bpermute_b32 v5, v11, v2
	v_cmp_gt_u32_e32 vcc, 60, v4
	v_cndmask_b32_e64 v10, 0, 1, vcc
	v_cmp_gt_u32_e32 vcc, s8, v6
	v_lshlrev_b32_e32 v10, 2, v10
	s_waitcnt lgkmcnt(0)
	v_cndmask_b32_e32 v5, 0, v5, vcc
	v_add_lshl_u32 v10, v10, v1, 2
	v_add_u32_e32 v2, v2, v5
	ds_bpermute_b32 v5, v10, v2
	v_cmp_gt_u32_e32 vcc, 56, v4
	v_cndmask_b32_e64 v6, 0, 1, vcc
	v_cmp_gt_u32_e32 vcc, s8, v7
	v_lshlrev_b32_e32 v6, 3, v6
	s_waitcnt lgkmcnt(0)
	v_cndmask_b32_e32 v5, 0, v5, vcc
	v_add_lshl_u32 v6, v6, v1, 2
	;; [unrolled: 9-line block ×3, first 2 shown]
	v_add_u32_e32 v2, v2, v5
	ds_bpermute_b32 v5, v6, v2
	v_cmp_gt_u32_e32 vcc, 32, v4
	v_cndmask_b32_e64 v4, 0, 1, vcc
	v_cmp_gt_u32_e32 vcc, s8, v9
	v_lshlrev_b32_e32 v4, 5, v4
	s_waitcnt lgkmcnt(0)
	v_cndmask_b32_e32 v5, 0, v5, vcc
	v_add_u32_e32 v2, v2, v5
	v_add_lshl_u32 v4, v4, v1, 2
	ds_bpermute_b32 v4, v4, v2
	v_cmp_eq_u32_e32 vcc, 0, v0
	s_and_saveexec_b64 s[0:1], vcc
	s_cbranch_execz .LBB81_2
; %bb.1:
	v_add_u32_e32 v0, 32, v1
	s_lshl_b64 s[0:1], s[6:7], 2
	v_cmp_gt_u32_e32 vcc, s8, v0
	s_add_u32 s0, s2, s0
	s_waitcnt lgkmcnt(0)
	v_cndmask_b32_e32 v0, 0, v4, vcc
	s_addc_u32 s1, s3, s1
	v_add_u32_e32 v0, v2, v0
	global_store_dword v3, v0, s[0:1]
.LBB81_2:
	s_endpgm
	.section	.rodata,"a",@progbits
	.p2align	6, 0x0
	.amdhsa_kernel _Z19reduce_valid_kernelILj64ELN6hipcub20BlockReduceAlgorithmE0EiEvPT1_S3_j
		.amdhsa_group_segment_fixed_size 0
		.amdhsa_private_segment_fixed_size 0
		.amdhsa_kernarg_size 20
		.amdhsa_user_sgpr_count 6
		.amdhsa_user_sgpr_private_segment_buffer 1
		.amdhsa_user_sgpr_dispatch_ptr 0
		.amdhsa_user_sgpr_queue_ptr 0
		.amdhsa_user_sgpr_kernarg_segment_ptr 1
		.amdhsa_user_sgpr_dispatch_id 0
		.amdhsa_user_sgpr_flat_scratch_init 0
		.amdhsa_user_sgpr_kernarg_preload_length 0
		.amdhsa_user_sgpr_kernarg_preload_offset 0
		.amdhsa_user_sgpr_private_segment_size 0
		.amdhsa_uses_dynamic_stack 0
		.amdhsa_system_sgpr_private_segment_wavefront_offset 0
		.amdhsa_system_sgpr_workgroup_id_x 1
		.amdhsa_system_sgpr_workgroup_id_y 0
		.amdhsa_system_sgpr_workgroup_id_z 0
		.amdhsa_system_sgpr_workgroup_info 0
		.amdhsa_system_vgpr_workitem_id 0
		.amdhsa_next_free_vgpr 12
		.amdhsa_next_free_sgpr 9
		.amdhsa_accum_offset 12
		.amdhsa_reserve_vcc 1
		.amdhsa_reserve_flat_scratch 0
		.amdhsa_float_round_mode_32 0
		.amdhsa_float_round_mode_16_64 0
		.amdhsa_float_denorm_mode_32 3
		.amdhsa_float_denorm_mode_16_64 3
		.amdhsa_dx10_clamp 1
		.amdhsa_ieee_mode 1
		.amdhsa_fp16_overflow 0
		.amdhsa_tg_split 0
		.amdhsa_exception_fp_ieee_invalid_op 0
		.amdhsa_exception_fp_denorm_src 0
		.amdhsa_exception_fp_ieee_div_zero 0
		.amdhsa_exception_fp_ieee_overflow 0
		.amdhsa_exception_fp_ieee_underflow 0
		.amdhsa_exception_fp_ieee_inexact 0
		.amdhsa_exception_int_div_zero 0
	.end_amdhsa_kernel
	.section	.text._Z19reduce_valid_kernelILj64ELN6hipcub20BlockReduceAlgorithmE0EiEvPT1_S3_j,"axG",@progbits,_Z19reduce_valid_kernelILj64ELN6hipcub20BlockReduceAlgorithmE0EiEvPT1_S3_j,comdat
.Lfunc_end81:
	.size	_Z19reduce_valid_kernelILj64ELN6hipcub20BlockReduceAlgorithmE0EiEvPT1_S3_j, .Lfunc_end81-_Z19reduce_valid_kernelILj64ELN6hipcub20BlockReduceAlgorithmE0EiEvPT1_S3_j
                                        ; -- End function
	.section	.AMDGPU.csdata,"",@progbits
; Kernel info:
; codeLenInByte = 424
; NumSgprs: 13
; NumVgprs: 12
; NumAgprs: 0
; TotalNumVgprs: 12
; ScratchSize: 0
; MemoryBound: 0
; FloatMode: 240
; IeeeMode: 1
; LDSByteSize: 0 bytes/workgroup (compile time only)
; SGPRBlocks: 1
; VGPRBlocks: 1
; NumSGPRsForWavesPerEU: 13
; NumVGPRsForWavesPerEU: 12
; AccumOffset: 12
; Occupancy: 8
; WaveLimiterHint : 0
; COMPUTE_PGM_RSRC2:SCRATCH_EN: 0
; COMPUTE_PGM_RSRC2:USER_SGPR: 6
; COMPUTE_PGM_RSRC2:TRAP_HANDLER: 0
; COMPUTE_PGM_RSRC2:TGID_X_EN: 1
; COMPUTE_PGM_RSRC2:TGID_Y_EN: 0
; COMPUTE_PGM_RSRC2:TGID_Z_EN: 0
; COMPUTE_PGM_RSRC2:TIDIG_COMP_CNT: 0
; COMPUTE_PGM_RSRC3_GFX90A:ACCUM_OFFSET: 2
; COMPUTE_PGM_RSRC3_GFX90A:TG_SPLIT: 0
	.section	.text._Z19reduce_array_kernelILj32ELj4ELN6hipcub20BlockReduceAlgorithmE1E12hip_bfloat16EvPT2_S4_,"axG",@progbits,_Z19reduce_array_kernelILj32ELj4ELN6hipcub20BlockReduceAlgorithmE1E12hip_bfloat16EvPT2_S4_,comdat
	.protected	_Z19reduce_array_kernelILj32ELj4ELN6hipcub20BlockReduceAlgorithmE1E12hip_bfloat16EvPT2_S4_ ; -- Begin function _Z19reduce_array_kernelILj32ELj4ELN6hipcub20BlockReduceAlgorithmE1E12hip_bfloat16EvPT2_S4_
	.globl	_Z19reduce_array_kernelILj32ELj4ELN6hipcub20BlockReduceAlgorithmE1E12hip_bfloat16EvPT2_S4_
	.p2align	8
	.type	_Z19reduce_array_kernelILj32ELj4ELN6hipcub20BlockReduceAlgorithmE1E12hip_bfloat16EvPT2_S4_,@function
_Z19reduce_array_kernelILj32ELj4ELN6hipcub20BlockReduceAlgorithmE1E12hip_bfloat16EvPT2_S4_: ; @_Z19reduce_array_kernelILj32ELj4ELN6hipcub20BlockReduceAlgorithmE1E12hip_bfloat16EvPT2_S4_
; %bb.0:
	s_load_dwordx4 s[0:3], s[4:5], 0x0
	v_lshlrev_b32_e32 v1, 2, v0
	v_lshl_or_b32 v2, s6, 7, v1
	v_mov_b32_e32 v3, 0
	v_lshlrev_b64 v[2:3], 1, v[2:3]
	s_waitcnt lgkmcnt(0)
	v_mov_b32_e32 v1, s1
	v_add_co_u32_e32 v2, vcc, s0, v2
	v_addc_co_u32_e32 v3, vcc, v1, v3, vcc
	global_load_dwordx2 v[2:3], v[2:3], off
	s_mov_b32 s0, 0x7f800000
	s_waitcnt vmcnt(0)
	v_and_b32_e32 v4, 0xffff0000, v2
	v_lshlrev_b32_e32 v2, 16, v2
	v_pk_add_f32 v[4:5], v[4:5], v[2:3] op_sel_hi:[0,1]
	v_and_b32_e32 v1, 0x7f800000, v4
	v_cmp_ne_u32_e32 vcc, s0, v1
                                        ; implicit-def: $vgpr1
	s_and_saveexec_b64 s[0:1], vcc
	s_xor_b64 s[0:1], exec, s[0:1]
; %bb.1:
	v_bfe_u32 v1, v4, 16, 1
	s_movk_i32 s4, 0x7fff
	v_add3_u32 v1, v4, v1, s4
                                        ; implicit-def: $vgpr4_vgpr5
; %bb.2:
	s_andn2_saveexec_b64 s[0:1], s[0:1]
; %bb.3:
	v_mov_b32_e32 v1, 0
	v_or_b32_e32 v2, 0x10000, v4
	v_cmp_eq_u32_sdwa vcc, v4, v1 src0_sel:WORD_0 src1_sel:DWORD
	v_cndmask_b32_e32 v1, v2, v4, vcc
; %bb.4:
	s_or_b64 exec, exec, s[0:1]
	v_and_b32_e32 v1, 0xffff0000, v1
	v_lshlrev_b32_e32 v2, 16, v3
	v_add_f32_e32 v1, v1, v2
	s_mov_b32 s0, 0x7f800000
	v_and_b32_e32 v2, 0x7f800000, v1
	v_cmp_ne_u32_e32 vcc, s0, v2
                                        ; implicit-def: $vgpr2
	s_and_saveexec_b64 s[0:1], vcc
	s_xor_b64 s[0:1], exec, s[0:1]
; %bb.5:
	v_bfe_u32 v2, v1, 16, 1
	s_movk_i32 s4, 0x7fff
	v_add3_u32 v2, v1, v2, s4
                                        ; implicit-def: $vgpr1
; %bb.6:
	s_andn2_saveexec_b64 s[0:1], s[0:1]
; %bb.7:
	v_mov_b32_e32 v2, 0
	v_or_b32_e32 v4, 0x10000, v1
	v_cmp_eq_u32_sdwa vcc, v1, v2 src0_sel:WORD_0 src1_sel:DWORD
	v_cndmask_b32_e32 v2, v4, v1, vcc
; %bb.8:
	s_or_b64 exec, exec, s[0:1]
	v_and_b32_e32 v1, 0xffff0000, v2
	v_and_b32_e32 v2, 0xffff0000, v3
	v_add_f32_e32 v1, v1, v2
	s_mov_b32 s0, 0x7f800000
	v_and_b32_e32 v2, 0x7f800000, v1
	v_cmp_ne_u32_e32 vcc, s0, v2
                                        ; implicit-def: $vgpr2
	s_and_saveexec_b64 s[0:1], vcc
	s_xor_b64 s[0:1], exec, s[0:1]
; %bb.9:
	v_bfe_u32 v2, v1, 16, 1
	s_movk_i32 s4, 0x7fff
	v_add3_u32 v2, v1, v2, s4
                                        ; implicit-def: $vgpr1
; %bb.10:
	s_andn2_saveexec_b64 s[0:1], s[0:1]
; %bb.11:
	v_mov_b32_e32 v2, 0
	v_or_b32_e32 v3, 0x10000, v1
	v_cmp_eq_u32_sdwa vcc, v1, v2 src0_sel:WORD_0 src1_sel:DWORD
	v_cndmask_b32_e32 v2, v3, v1, vcc
; %bb.12:
	s_or_b64 exec, exec, s[0:1]
	v_lshlrev_b32_e32 v3, 1, v0
	v_cmp_gt_u32_e32 vcc, 32, v0
	ds_write_b16_d16_hi v3, v2
	s_waitcnt lgkmcnt(0)
	; wave barrier
	s_waitcnt lgkmcnt(0)
                                        ; implicit-def: $vgpr1
	s_and_saveexec_b64 s[0:1], vcc
	s_xor_b64 s[0:1], exec, s[0:1]
	s_cbranch_execz .LBB82_34
; %bb.13:
	v_mbcnt_lo_u32_b32 v1, -1, 0
	ds_read_u16 v2, v3
	v_mbcnt_hi_u32_b32 v1, -1, v1
	v_and_b32_e32 v4, 31, v1
	v_cmp_ne_u32_e32 vcc, 31, v4
	v_addc_co_u32_e32 v3, vcc, 0, v1, vcc
	v_lshlrev_b32_e32 v3, 2, v3
	s_waitcnt lgkmcnt(0)
	ds_bpermute_b32 v3, v3, v2
	v_lshlrev_b32_e32 v2, 16, v2
	s_mov_b32 s4, 0x7f800000
                                        ; implicit-def: $vgpr5
	s_waitcnt lgkmcnt(0)
	v_lshlrev_b32_e32 v6, 16, v3
	v_pk_add_f32 v[2:3], v[6:7], v[2:3] op_sel_hi:[0,1]
	v_and_b32_e32 v3, 0x7f800000, v2
	v_cmp_ne_u32_e32 vcc, s4, v3
	s_and_saveexec_b64 s[4:5], vcc
	s_xor_b64 s[4:5], exec, s[4:5]
; %bb.14:
	v_bfe_u32 v3, v2, 16, 1
	s_movk_i32 s7, 0x7fff
	v_add3_u32 v5, v2, v3, s7
                                        ; implicit-def: $vgpr2_vgpr3
; %bb.15:
	s_andn2_saveexec_b64 s[4:5], s[4:5]
; %bb.16:
	v_mov_b32_e32 v3, 0
	v_or_b32_e32 v5, 0x10000, v2
	v_cmp_eq_u32_sdwa vcc, v2, v3 src0_sel:WORD_0 src1_sel:DWORD
	v_cndmask_b32_e32 v5, v5, v2, vcc
; %bb.17:
	s_or_b64 exec, exec, s[4:5]
	v_cmp_gt_u32_e32 vcc, 30, v4
	v_cndmask_b32_e64 v3, 0, 1, vcc
	v_lshlrev_b32_e32 v3, 1, v3
	v_lshrrev_b32_e32 v2, 16, v5
	v_add_lshl_u32 v3, v3, v1, 2
	ds_bpermute_b32 v2, v3, v2
	v_and_b32_e32 v3, 0xffff0000, v5
	s_mov_b32 s4, 0x7f800000
	s_waitcnt lgkmcnt(0)
	v_lshlrev_b32_e32 v2, 16, v2
	v_add_f32_e32 v3, v3, v2
	v_and_b32_e32 v2, 0x7f800000, v3
	v_cmp_ne_u32_e32 vcc, s4, v2
                                        ; implicit-def: $vgpr2
	s_and_saveexec_b64 s[4:5], vcc
	s_xor_b64 s[4:5], exec, s[4:5]
; %bb.18:
	v_bfe_u32 v2, v3, 16, 1
	s_movk_i32 s7, 0x7fff
	v_add3_u32 v2, v3, v2, s7
                                        ; implicit-def: $vgpr3
; %bb.19:
	s_andn2_saveexec_b64 s[4:5], s[4:5]
; %bb.20:
	v_mov_b32_e32 v2, 0
	v_or_b32_e32 v5, 0x10000, v3
	v_cmp_eq_u32_sdwa vcc, v3, v2 src0_sel:WORD_0 src1_sel:DWORD
	v_cndmask_b32_e32 v2, v5, v3, vcc
; %bb.21:
	s_or_b64 exec, exec, s[4:5]
	v_cmp_gt_u32_e32 vcc, 28, v4
	v_cndmask_b32_e64 v5, 0, 1, vcc
	v_lshlrev_b32_e32 v5, 2, v5
	v_lshrrev_b32_e32 v3, 16, v2
	v_add_lshl_u32 v5, v5, v1, 2
	ds_bpermute_b32 v3, v5, v3
	v_and_b32_e32 v2, 0xffff0000, v2
	s_mov_b32 s4, 0x7f800000
	s_waitcnt lgkmcnt(0)
	v_lshlrev_b32_e32 v3, 16, v3
	v_add_f32_e32 v3, v2, v3
	v_and_b32_e32 v2, 0x7f800000, v3
	v_cmp_ne_u32_e32 vcc, s4, v2
                                        ; implicit-def: $vgpr2
	s_and_saveexec_b64 s[4:5], vcc
	s_xor_b64 s[4:5], exec, s[4:5]
; %bb.22:
	v_bfe_u32 v2, v3, 16, 1
	s_movk_i32 s7, 0x7fff
	v_add3_u32 v2, v3, v2, s7
                                        ; implicit-def: $vgpr3
	;; [unrolled: 30-line block ×3, first 2 shown]
; %bb.27:
	s_andn2_saveexec_b64 s[4:5], s[4:5]
; %bb.28:
	v_mov_b32_e32 v2, 0
	v_or_b32_e32 v5, 0x10000, v3
	v_cmp_eq_u32_sdwa vcc, v3, v2 src0_sel:WORD_0 src1_sel:DWORD
	v_cndmask_b32_e32 v2, v5, v3, vcc
; %bb.29:
	s_or_b64 exec, exec, s[4:5]
	v_cmp_gt_u32_e32 vcc, 16, v4
	v_cndmask_b32_e64 v4, 0, 1, vcc
	v_lshlrev_b32_e32 v4, 4, v4
	v_lshrrev_b32_e32 v3, 16, v2
	v_add_lshl_u32 v1, v4, v1, 2
	ds_bpermute_b32 v1, v1, v3
	v_and_b32_e32 v2, 0xffff0000, v2
	s_mov_b32 s4, 0x7f800000
	s_waitcnt lgkmcnt(0)
	v_lshlrev_b32_e32 v1, 16, v1
	v_add_f32_e32 v1, v2, v1
	v_and_b32_e32 v2, 0x7f800000, v1
	v_cmp_ne_u32_e32 vcc, s4, v2
                                        ; implicit-def: $vgpr2
	s_and_saveexec_b64 s[4:5], vcc
	s_xor_b64 s[4:5], exec, s[4:5]
; %bb.30:
	v_bfe_u32 v2, v1, 16, 1
	s_movk_i32 s7, 0x7fff
	v_add3_u32 v2, v1, v2, s7
                                        ; implicit-def: $vgpr1
; %bb.31:
	s_andn2_saveexec_b64 s[4:5], s[4:5]
; %bb.32:
	v_mov_b32_e32 v2, 0
	v_or_b32_e32 v3, 0x10000, v1
	v_cmp_eq_u32_sdwa vcc, v1, v2 src0_sel:WORD_0 src1_sel:DWORD
	v_cndmask_b32_e32 v2, v3, v1, vcc
; %bb.33:
	s_or_b64 exec, exec, s[4:5]
	v_lshrrev_b32_e32 v1, 16, v2
.LBB82_34:
	s_or_b64 exec, exec, s[0:1]
	s_mov_b32 s7, 0
	v_cmp_eq_u32_e32 vcc, 0, v0
	s_and_saveexec_b64 s[0:1], vcc
	s_cbranch_execz .LBB82_36
; %bb.35:
	s_lshl_b64 s[0:1], s[6:7], 1
	s_add_u32 s0, s2, s0
	s_addc_u32 s1, s3, s1
	v_mov_b32_e32 v0, 0
	global_store_short v0, v1, s[0:1]
.LBB82_36:
	s_endpgm
	.section	.rodata,"a",@progbits
	.p2align	6, 0x0
	.amdhsa_kernel _Z19reduce_array_kernelILj32ELj4ELN6hipcub20BlockReduceAlgorithmE1E12hip_bfloat16EvPT2_S4_
		.amdhsa_group_segment_fixed_size 64
		.amdhsa_private_segment_fixed_size 0
		.amdhsa_kernarg_size 16
		.amdhsa_user_sgpr_count 6
		.amdhsa_user_sgpr_private_segment_buffer 1
		.amdhsa_user_sgpr_dispatch_ptr 0
		.amdhsa_user_sgpr_queue_ptr 0
		.amdhsa_user_sgpr_kernarg_segment_ptr 1
		.amdhsa_user_sgpr_dispatch_id 0
		.amdhsa_user_sgpr_flat_scratch_init 0
		.amdhsa_user_sgpr_kernarg_preload_length 0
		.amdhsa_user_sgpr_kernarg_preload_offset 0
		.amdhsa_user_sgpr_private_segment_size 0
		.amdhsa_uses_dynamic_stack 0
		.amdhsa_system_sgpr_private_segment_wavefront_offset 0
		.amdhsa_system_sgpr_workgroup_id_x 1
		.amdhsa_system_sgpr_workgroup_id_y 0
		.amdhsa_system_sgpr_workgroup_id_z 0
		.amdhsa_system_sgpr_workgroup_info 0
		.amdhsa_system_vgpr_workitem_id 0
		.amdhsa_next_free_vgpr 8
		.amdhsa_next_free_sgpr 8
		.amdhsa_accum_offset 8
		.amdhsa_reserve_vcc 1
		.amdhsa_reserve_flat_scratch 0
		.amdhsa_float_round_mode_32 0
		.amdhsa_float_round_mode_16_64 0
		.amdhsa_float_denorm_mode_32 3
		.amdhsa_float_denorm_mode_16_64 3
		.amdhsa_dx10_clamp 1
		.amdhsa_ieee_mode 1
		.amdhsa_fp16_overflow 0
		.amdhsa_tg_split 0
		.amdhsa_exception_fp_ieee_invalid_op 0
		.amdhsa_exception_fp_denorm_src 0
		.amdhsa_exception_fp_ieee_div_zero 0
		.amdhsa_exception_fp_ieee_overflow 0
		.amdhsa_exception_fp_ieee_underflow 0
		.amdhsa_exception_fp_ieee_inexact 0
		.amdhsa_exception_int_div_zero 0
	.end_amdhsa_kernel
	.section	.text._Z19reduce_array_kernelILj32ELj4ELN6hipcub20BlockReduceAlgorithmE1E12hip_bfloat16EvPT2_S4_,"axG",@progbits,_Z19reduce_array_kernelILj32ELj4ELN6hipcub20BlockReduceAlgorithmE1E12hip_bfloat16EvPT2_S4_,comdat
.Lfunc_end82:
	.size	_Z19reduce_array_kernelILj32ELj4ELN6hipcub20BlockReduceAlgorithmE1E12hip_bfloat16EvPT2_S4_, .Lfunc_end82-_Z19reduce_array_kernelILj32ELj4ELN6hipcub20BlockReduceAlgorithmE1E12hip_bfloat16EvPT2_S4_
                                        ; -- End function
	.section	.AMDGPU.csdata,"",@progbits
; Kernel info:
; codeLenInByte = 1140
; NumSgprs: 12
; NumVgprs: 8
; NumAgprs: 0
; TotalNumVgprs: 8
; ScratchSize: 0
; MemoryBound: 0
; FloatMode: 240
; IeeeMode: 1
; LDSByteSize: 64 bytes/workgroup (compile time only)
; SGPRBlocks: 1
; VGPRBlocks: 0
; NumSGPRsForWavesPerEU: 12
; NumVGPRsForWavesPerEU: 8
; AccumOffset: 8
; Occupancy: 8
; WaveLimiterHint : 0
; COMPUTE_PGM_RSRC2:SCRATCH_EN: 0
; COMPUTE_PGM_RSRC2:USER_SGPR: 6
; COMPUTE_PGM_RSRC2:TRAP_HANDLER: 0
; COMPUTE_PGM_RSRC2:TGID_X_EN: 1
; COMPUTE_PGM_RSRC2:TGID_Y_EN: 0
; COMPUTE_PGM_RSRC2:TGID_Z_EN: 0
; COMPUTE_PGM_RSRC2:TIDIG_COMP_CNT: 0
; COMPUTE_PGM_RSRC3_GFX90A:ACCUM_OFFSET: 1
; COMPUTE_PGM_RSRC3_GFX90A:TG_SPLIT: 0
	.section	.text._Z19reduce_array_kernelILj32ELj4ELN6hipcub20BlockReduceAlgorithmE1E6__halfEvPT2_S4_,"axG",@progbits,_Z19reduce_array_kernelILj32ELj4ELN6hipcub20BlockReduceAlgorithmE1E6__halfEvPT2_S4_,comdat
	.protected	_Z19reduce_array_kernelILj32ELj4ELN6hipcub20BlockReduceAlgorithmE1E6__halfEvPT2_S4_ ; -- Begin function _Z19reduce_array_kernelILj32ELj4ELN6hipcub20BlockReduceAlgorithmE1E6__halfEvPT2_S4_
	.globl	_Z19reduce_array_kernelILj32ELj4ELN6hipcub20BlockReduceAlgorithmE1E6__halfEvPT2_S4_
	.p2align	8
	.type	_Z19reduce_array_kernelILj32ELj4ELN6hipcub20BlockReduceAlgorithmE1E6__halfEvPT2_S4_,@function
_Z19reduce_array_kernelILj32ELj4ELN6hipcub20BlockReduceAlgorithmE1E6__halfEvPT2_S4_: ; @_Z19reduce_array_kernelILj32ELj4ELN6hipcub20BlockReduceAlgorithmE1E6__halfEvPT2_S4_
; %bb.0:
	s_load_dwordx4 s[0:3], s[4:5], 0x0
	v_lshlrev_b32_e32 v1, 2, v0
	v_lshl_or_b32 v2, s6, 7, v1
	v_mov_b32_e32 v3, 0
	v_lshlrev_b64 v[2:3], 1, v[2:3]
	s_waitcnt lgkmcnt(0)
	v_mov_b32_e32 v1, s1
	v_add_co_u32_e32 v2, vcc, s0, v2
	v_addc_co_u32_e32 v3, vcc, v1, v3, vcc
	global_load_dwordx2 v[4:5], v[2:3], off
	v_lshlrev_b32_e32 v2, 1, v0
	v_cmp_gt_u32_e32 vcc, 32, v0
	s_waitcnt vmcnt(0)
	v_add_f16_sdwa v1, v4, v4 dst_sel:DWORD dst_unused:UNUSED_PAD src0_sel:DWORD src1_sel:WORD_1
	v_add_f16_e32 v1, v1, v5
	v_add_f16_sdwa v1, v1, v5 dst_sel:DWORD dst_unused:UNUSED_PAD src0_sel:DWORD src1_sel:WORD_1
	ds_write_b16 v2, v1
	s_waitcnt lgkmcnt(0)
	; wave barrier
	s_waitcnt lgkmcnt(0)
                                        ; implicit-def: $vgpr1
	s_and_saveexec_b64 s[0:1], vcc
	s_cbranch_execz .LBB83_2
; %bb.1:
	ds_read_u16 v1, v2
	v_mbcnt_lo_u32_b32 v2, -1, 0
	v_mbcnt_hi_u32_b32 v2, -1, v2
	v_and_b32_e32 v3, 31, v2
	v_cmp_ne_u32_e32 vcc, 31, v3
	v_addc_co_u32_e32 v5, vcc, 0, v2, vcc
	s_waitcnt lgkmcnt(0)
	v_and_b32_e32 v4, 0xffff, v1
	v_lshlrev_b32_e32 v5, 2, v5
	ds_bpermute_b32 v4, v5, v4
	v_cmp_gt_u32_e32 vcc, 30, v3
	s_waitcnt lgkmcnt(0)
	v_add_f16_e32 v1, v1, v4
	v_cndmask_b32_e64 v4, 0, 1, vcc
	v_lshlrev_b32_e32 v4, 1, v4
	v_add_lshl_u32 v4, v4, v2, 2
	ds_bpermute_b32 v4, v4, v1
	v_cmp_gt_u32_e32 vcc, 28, v3
	s_waitcnt lgkmcnt(0)
	v_add_f16_e32 v1, v1, v4
	v_cndmask_b32_e64 v4, 0, 1, vcc
	v_lshlrev_b32_e32 v4, 2, v4
	v_add_lshl_u32 v4, v4, v2, 2
	;; [unrolled: 7-line block ×3, first 2 shown]
	ds_bpermute_b32 v4, v4, v1
	v_cmp_gt_u32_e32 vcc, 16, v3
	v_cndmask_b32_e64 v3, 0, 1, vcc
	v_lshlrev_b32_e32 v3, 4, v3
	v_add_lshl_u32 v2, v3, v2, 2
	s_waitcnt lgkmcnt(0)
	v_add_f16_e32 v1, v1, v4
	ds_bpermute_b32 v2, v2, v1
	s_waitcnt lgkmcnt(0)
	v_add_f16_e32 v1, v1, v2
.LBB83_2:
	s_or_b64 exec, exec, s[0:1]
	s_mov_b32 s7, 0
	v_cmp_eq_u32_e32 vcc, 0, v0
	s_and_saveexec_b64 s[0:1], vcc
	s_cbranch_execz .LBB83_4
; %bb.3:
	s_lshl_b64 s[0:1], s[6:7], 1
	s_add_u32 s0, s2, s0
	s_addc_u32 s1, s3, s1
	v_mov_b32_e32 v0, 0
	global_store_short v0, v1, s[0:1]
.LBB83_4:
	s_endpgm
	.section	.rodata,"a",@progbits
	.p2align	6, 0x0
	.amdhsa_kernel _Z19reduce_array_kernelILj32ELj4ELN6hipcub20BlockReduceAlgorithmE1E6__halfEvPT2_S4_
		.amdhsa_group_segment_fixed_size 64
		.amdhsa_private_segment_fixed_size 0
		.amdhsa_kernarg_size 16
		.amdhsa_user_sgpr_count 6
		.amdhsa_user_sgpr_private_segment_buffer 1
		.amdhsa_user_sgpr_dispatch_ptr 0
		.amdhsa_user_sgpr_queue_ptr 0
		.amdhsa_user_sgpr_kernarg_segment_ptr 1
		.amdhsa_user_sgpr_dispatch_id 0
		.amdhsa_user_sgpr_flat_scratch_init 0
		.amdhsa_user_sgpr_kernarg_preload_length 0
		.amdhsa_user_sgpr_kernarg_preload_offset 0
		.amdhsa_user_sgpr_private_segment_size 0
		.amdhsa_uses_dynamic_stack 0
		.amdhsa_system_sgpr_private_segment_wavefront_offset 0
		.amdhsa_system_sgpr_workgroup_id_x 1
		.amdhsa_system_sgpr_workgroup_id_y 0
		.amdhsa_system_sgpr_workgroup_id_z 0
		.amdhsa_system_sgpr_workgroup_info 0
		.amdhsa_system_vgpr_workitem_id 0
		.amdhsa_next_free_vgpr 6
		.amdhsa_next_free_sgpr 8
		.amdhsa_accum_offset 8
		.amdhsa_reserve_vcc 1
		.amdhsa_reserve_flat_scratch 0
		.amdhsa_float_round_mode_32 0
		.amdhsa_float_round_mode_16_64 0
		.amdhsa_float_denorm_mode_32 3
		.amdhsa_float_denorm_mode_16_64 3
		.amdhsa_dx10_clamp 1
		.amdhsa_ieee_mode 1
		.amdhsa_fp16_overflow 0
		.amdhsa_tg_split 0
		.amdhsa_exception_fp_ieee_invalid_op 0
		.amdhsa_exception_fp_denorm_src 0
		.amdhsa_exception_fp_ieee_div_zero 0
		.amdhsa_exception_fp_ieee_overflow 0
		.amdhsa_exception_fp_ieee_underflow 0
		.amdhsa_exception_fp_ieee_inexact 0
		.amdhsa_exception_int_div_zero 0
	.end_amdhsa_kernel
	.section	.text._Z19reduce_array_kernelILj32ELj4ELN6hipcub20BlockReduceAlgorithmE1E6__halfEvPT2_S4_,"axG",@progbits,_Z19reduce_array_kernelILj32ELj4ELN6hipcub20BlockReduceAlgorithmE1E6__halfEvPT2_S4_,comdat
.Lfunc_end83:
	.size	_Z19reduce_array_kernelILj32ELj4ELN6hipcub20BlockReduceAlgorithmE1E6__halfEvPT2_S4_, .Lfunc_end83-_Z19reduce_array_kernelILj32ELj4ELN6hipcub20BlockReduceAlgorithmE1E6__halfEvPT2_S4_
                                        ; -- End function
	.section	.AMDGPU.csdata,"",@progbits
; Kernel info:
; codeLenInByte = 388
; NumSgprs: 12
; NumVgprs: 6
; NumAgprs: 0
; TotalNumVgprs: 6
; ScratchSize: 0
; MemoryBound: 0
; FloatMode: 240
; IeeeMode: 1
; LDSByteSize: 64 bytes/workgroup (compile time only)
; SGPRBlocks: 1
; VGPRBlocks: 0
; NumSGPRsForWavesPerEU: 12
; NumVGPRsForWavesPerEU: 6
; AccumOffset: 8
; Occupancy: 8
; WaveLimiterHint : 0
; COMPUTE_PGM_RSRC2:SCRATCH_EN: 0
; COMPUTE_PGM_RSRC2:USER_SGPR: 6
; COMPUTE_PGM_RSRC2:TRAP_HANDLER: 0
; COMPUTE_PGM_RSRC2:TGID_X_EN: 1
; COMPUTE_PGM_RSRC2:TGID_Y_EN: 0
; COMPUTE_PGM_RSRC2:TGID_Z_EN: 0
; COMPUTE_PGM_RSRC2:TIDIG_COMP_CNT: 0
; COMPUTE_PGM_RSRC3_GFX90A:ACCUM_OFFSET: 1
; COMPUTE_PGM_RSRC3_GFX90A:TG_SPLIT: 0
	.section	.text._Z19reduce_array_kernelILj255ELj15ELN6hipcub20BlockReduceAlgorithmE1EfEvPT2_S3_,"axG",@progbits,_Z19reduce_array_kernelILj255ELj15ELN6hipcub20BlockReduceAlgorithmE1EfEvPT2_S3_,comdat
	.protected	_Z19reduce_array_kernelILj255ELj15ELN6hipcub20BlockReduceAlgorithmE1EfEvPT2_S3_ ; -- Begin function _Z19reduce_array_kernelILj255ELj15ELN6hipcub20BlockReduceAlgorithmE1EfEvPT2_S3_
	.globl	_Z19reduce_array_kernelILj255ELj15ELN6hipcub20BlockReduceAlgorithmE1EfEvPT2_S3_
	.p2align	8
	.type	_Z19reduce_array_kernelILj255ELj15ELN6hipcub20BlockReduceAlgorithmE1EfEvPT2_S3_,@function
_Z19reduce_array_kernelILj255ELj15ELN6hipcub20BlockReduceAlgorithmE1EfEvPT2_S3_: ; @_Z19reduce_array_kernelILj255ELj15ELN6hipcub20BlockReduceAlgorithmE1EfEvPT2_S3_
; %bb.0:
	s_load_dwordx4 s[0:3], s[4:5], 0x0
	s_mul_i32 s4, s6, 0xff
	v_add_u32_e32 v1, s4, v0
	v_mul_lo_u32 v2, v1, 15
	v_mov_b32_e32 v3, 0
	v_lshlrev_b64 v[4:5], 2, v[2:3]
	s_waitcnt lgkmcnt(0)
	v_mov_b32_e32 v1, s1
	v_add_co_u32_e32 v4, vcc, s0, v4
	v_add_u32_e32 v6, 1, v2
	v_mov_b32_e32 v7, v3
	v_addc_co_u32_e32 v5, vcc, v1, v5, vcc
	v_lshlrev_b64 v[6:7], 2, v[6:7]
	v_add_co_u32_e32 v6, vcc, s0, v6
	v_add_u32_e32 v8, 2, v2
	v_mov_b32_e32 v9, v3
	v_addc_co_u32_e32 v7, vcc, v1, v7, vcc
	v_lshlrev_b64 v[8:9], 2, v[8:9]
	;; [unrolled: 5-line block ×7, first 2 shown]
	v_add_co_u32_e32 v18, vcc, s0, v18
	v_addc_co_u32_e32 v19, vcc, v1, v19, vcc
	global_load_dword v1, v[4:5], off
	global_load_dword v20, v[6:7], off
	;; [unrolled: 1-line block ×8, first 2 shown]
	v_add_u32_e32 v4, 8, v2
	v_mov_b32_e32 v5, v3
	v_lshlrev_b64 v[4:5], 2, v[4:5]
	v_mov_b32_e32 v6, s1
	v_add_co_u32_e32 v4, vcc, s0, v4
	v_addc_co_u32_e32 v5, vcc, v6, v5, vcc
	v_add_u32_e32 v6, 9, v2
	v_mov_b32_e32 v7, v3
	v_lshlrev_b64 v[6:7], 2, v[6:7]
	v_mov_b32_e32 v8, s1
	v_add_co_u32_e32 v6, vcc, s0, v6
	v_addc_co_u32_e32 v7, vcc, v8, v7, vcc
	;; [unrolled: 6-line block ×5, first 2 shown]
	v_add_u32_e32 v14, 13, v2
	v_mov_b32_e32 v15, v3
	v_lshlrev_b64 v[14:15], 2, v[14:15]
	v_mov_b32_e32 v16, s1
	v_add_co_u32_e32 v14, vcc, s0, v14
	v_add_u32_e32 v2, 14, v2
	v_addc_co_u32_e32 v15, vcc, v16, v15, vcc
	v_lshlrev_b64 v[2:3], 2, v[2:3]
	v_add_co_u32_e32 v2, vcc, s0, v2
	v_addc_co_u32_e32 v3, vcc, v16, v3, vcc
	global_load_dword v16, v[4:5], off
	global_load_dword v17, v[6:7], off
	;; [unrolled: 1-line block ×7, first 2 shown]
	v_lshlrev_b32_e32 v2, 2, v0
	v_cmp_ne_u32_e32 vcc, 63, v0
	s_waitcnt vmcnt(13)
	v_add_f32_e32 v1, v1, v20
	s_waitcnt vmcnt(12)
	v_add_f32_e32 v1, v21, v1
	;; [unrolled: 2-line block ×14, first 2 shown]
	ds_write_b32 v2, v1
	v_lshlrev_b32_e32 v1, 4, v0
	s_waitcnt lgkmcnt(0)
	s_barrier
	ds_read2_b32 v[2:3], v1 offset1:1
	ds_read_b32 v4, v1 offset:8
	s_waitcnt lgkmcnt(1)
	v_add_f32_e32 v2, v2, v3
	s_waitcnt lgkmcnt(0)
	v_add_f32_e32 v2, v2, v4
	s_and_saveexec_b64 s[0:1], vcc
	s_cbranch_execz .LBB84_2
; %bb.1:
	ds_read_b32 v1, v1 offset:12
	s_waitcnt lgkmcnt(0)
	v_add_f32_e32 v2, v2, v1
.LBB84_2:
	s_or_b64 exec, exec, s[0:1]
	v_mbcnt_lo_u32_b32 v1, -1, 0
	v_mbcnt_hi_u32_b32 v1, -1, v1
	v_and_b32_e32 v3, 63, v1
	v_cmp_ne_u32_e32 vcc, 63, v3
	v_addc_co_u32_e32 v4, vcc, 0, v1, vcc
	v_lshlrev_b32_e32 v4, 2, v4
	ds_bpermute_b32 v4, v4, v2
	v_add_u32_e32 v5, 1, v1
	v_cmp_gt_u32_e32 vcc, 64, v5
	v_add_u32_e32 v5, 2, v1
	s_waitcnt lgkmcnt(0)
	v_add_f32_e32 v4, v2, v4
	v_cndmask_b32_e32 v2, v2, v4, vcc
	v_cmp_gt_u32_e32 vcc, 62, v3
	v_cndmask_b32_e64 v4, 0, 1, vcc
	v_lshlrev_b32_e32 v4, 1, v4
	v_add_lshl_u32 v4, v4, v1, 2
	ds_bpermute_b32 v4, v4, v2
	v_cmp_gt_u32_e32 vcc, 64, v5
	v_add_u32_e32 v5, 4, v1
	s_waitcnt lgkmcnt(0)
	v_add_f32_e32 v4, v2, v4
	v_cndmask_b32_e32 v2, v2, v4, vcc
	v_cmp_gt_u32_e32 vcc, 60, v3
	v_cndmask_b32_e64 v4, 0, 1, vcc
	v_lshlrev_b32_e32 v4, 2, v4
	v_add_lshl_u32 v4, v4, v1, 2
	ds_bpermute_b32 v4, v4, v2
	;; [unrolled: 10-line block ×4, first 2 shown]
	v_cmp_gt_u32_e32 vcc, 64, v5
	s_waitcnt lgkmcnt(0)
	v_add_f32_e32 v4, v2, v4
	v_cndmask_b32_e32 v2, v2, v4, vcc
	v_cmp_gt_u32_e32 vcc, 32, v3
	v_cndmask_b32_e64 v3, 0, 1, vcc
	v_lshlrev_b32_e32 v3, 5, v3
	v_add_lshl_u32 v3, v3, v1, 2
	ds_bpermute_b32 v3, v3, v2
	v_cmp_eq_u32_e32 vcc, 0, v0
	s_and_saveexec_b64 s[0:1], vcc
	s_cbranch_execz .LBB84_4
; %bb.3:
	s_mov_b32 s7, 0
	s_lshl_b64 s[0:1], s[6:7], 2
	v_add_u32_e32 v1, 32, v1
	s_add_u32 s0, s2, s0
	s_waitcnt lgkmcnt(0)
	v_add_f32_e32 v3, v2, v3
	v_cmp_gt_u32_e32 vcc, 64, v1
	s_addc_u32 s1, s3, s1
	v_mov_b32_e32 v0, 0
	v_cndmask_b32_e32 v1, v2, v3, vcc
	global_store_dword v0, v1, s[0:1]
.LBB84_4:
	s_endpgm
	.section	.rodata,"a",@progbits
	.p2align	6, 0x0
	.amdhsa_kernel _Z19reduce_array_kernelILj255ELj15ELN6hipcub20BlockReduceAlgorithmE1EfEvPT2_S3_
		.amdhsa_group_segment_fixed_size 1020
		.amdhsa_private_segment_fixed_size 0
		.amdhsa_kernarg_size 16
		.amdhsa_user_sgpr_count 6
		.amdhsa_user_sgpr_private_segment_buffer 1
		.amdhsa_user_sgpr_dispatch_ptr 0
		.amdhsa_user_sgpr_queue_ptr 0
		.amdhsa_user_sgpr_kernarg_segment_ptr 1
		.amdhsa_user_sgpr_dispatch_id 0
		.amdhsa_user_sgpr_flat_scratch_init 0
		.amdhsa_user_sgpr_kernarg_preload_length 0
		.amdhsa_user_sgpr_kernarg_preload_offset 0
		.amdhsa_user_sgpr_private_segment_size 0
		.amdhsa_uses_dynamic_stack 0
		.amdhsa_system_sgpr_private_segment_wavefront_offset 0
		.amdhsa_system_sgpr_workgroup_id_x 1
		.amdhsa_system_sgpr_workgroup_id_y 0
		.amdhsa_system_sgpr_workgroup_id_z 0
		.amdhsa_system_sgpr_workgroup_info 0
		.amdhsa_system_vgpr_workitem_id 0
		.amdhsa_next_free_vgpr 30
		.amdhsa_next_free_sgpr 8
		.amdhsa_accum_offset 32
		.amdhsa_reserve_vcc 1
		.amdhsa_reserve_flat_scratch 0
		.amdhsa_float_round_mode_32 0
		.amdhsa_float_round_mode_16_64 0
		.amdhsa_float_denorm_mode_32 3
		.amdhsa_float_denorm_mode_16_64 3
		.amdhsa_dx10_clamp 1
		.amdhsa_ieee_mode 1
		.amdhsa_fp16_overflow 0
		.amdhsa_tg_split 0
		.amdhsa_exception_fp_ieee_invalid_op 0
		.amdhsa_exception_fp_denorm_src 0
		.amdhsa_exception_fp_ieee_div_zero 0
		.amdhsa_exception_fp_ieee_overflow 0
		.amdhsa_exception_fp_ieee_underflow 0
		.amdhsa_exception_fp_ieee_inexact 0
		.amdhsa_exception_int_div_zero 0
	.end_amdhsa_kernel
	.section	.text._Z19reduce_array_kernelILj255ELj15ELN6hipcub20BlockReduceAlgorithmE1EfEvPT2_S3_,"axG",@progbits,_Z19reduce_array_kernelILj255ELj15ELN6hipcub20BlockReduceAlgorithmE1EfEvPT2_S3_,comdat
.Lfunc_end84:
	.size	_Z19reduce_array_kernelILj255ELj15ELN6hipcub20BlockReduceAlgorithmE1EfEvPT2_S3_, .Lfunc_end84-_Z19reduce_array_kernelILj255ELj15ELN6hipcub20BlockReduceAlgorithmE1EfEvPT2_S3_
                                        ; -- End function
	.section	.AMDGPU.csdata,"",@progbits
; Kernel info:
; codeLenInByte = 1096
; NumSgprs: 12
; NumVgprs: 30
; NumAgprs: 0
; TotalNumVgprs: 30
; ScratchSize: 0
; MemoryBound: 0
; FloatMode: 240
; IeeeMode: 1
; LDSByteSize: 1020 bytes/workgroup (compile time only)
; SGPRBlocks: 1
; VGPRBlocks: 3
; NumSGPRsForWavesPerEU: 12
; NumVGPRsForWavesPerEU: 30
; AccumOffset: 32
; Occupancy: 8
; WaveLimiterHint : 0
; COMPUTE_PGM_RSRC2:SCRATCH_EN: 0
; COMPUTE_PGM_RSRC2:USER_SGPR: 6
; COMPUTE_PGM_RSRC2:TRAP_HANDLER: 0
; COMPUTE_PGM_RSRC2:TGID_X_EN: 1
; COMPUTE_PGM_RSRC2:TGID_Y_EN: 0
; COMPUTE_PGM_RSRC2:TGID_Z_EN: 0
; COMPUTE_PGM_RSRC2:TIDIG_COMP_CNT: 0
; COMPUTE_PGM_RSRC3_GFX90A:ACCUM_OFFSET: 7
; COMPUTE_PGM_RSRC3_GFX90A:TG_SPLIT: 0
	.section	.text._Z19reduce_array_kernelILj162ELj7ELN6hipcub20BlockReduceAlgorithmE1EfEvPT2_S3_,"axG",@progbits,_Z19reduce_array_kernelILj162ELj7ELN6hipcub20BlockReduceAlgorithmE1EfEvPT2_S3_,comdat
	.protected	_Z19reduce_array_kernelILj162ELj7ELN6hipcub20BlockReduceAlgorithmE1EfEvPT2_S3_ ; -- Begin function _Z19reduce_array_kernelILj162ELj7ELN6hipcub20BlockReduceAlgorithmE1EfEvPT2_S3_
	.globl	_Z19reduce_array_kernelILj162ELj7ELN6hipcub20BlockReduceAlgorithmE1EfEvPT2_S3_
	.p2align	8
	.type	_Z19reduce_array_kernelILj162ELj7ELN6hipcub20BlockReduceAlgorithmE1EfEvPT2_S3_,@function
_Z19reduce_array_kernelILj162ELj7ELN6hipcub20BlockReduceAlgorithmE1EfEvPT2_S3_: ; @_Z19reduce_array_kernelILj162ELj7ELN6hipcub20BlockReduceAlgorithmE1EfEvPT2_S3_
; %bb.0:
	s_load_dwordx4 s[0:3], s[4:5], 0x0
	s_mul_i32 s4, s6, 0xa2
	v_add_u32_e32 v1, s4, v0
	v_mul_lo_u32 v2, v1, 7
	v_mov_b32_e32 v3, 0
	v_lshlrev_b64 v[4:5], 2, v[2:3]
	s_waitcnt lgkmcnt(0)
	v_mov_b32_e32 v1, s1
	v_add_co_u32_e32 v4, vcc, s0, v4
	v_add_u32_e32 v6, 1, v2
	v_mov_b32_e32 v7, v3
	v_addc_co_u32_e32 v5, vcc, v1, v5, vcc
	v_lshlrev_b64 v[6:7], 2, v[6:7]
	v_add_co_u32_e32 v6, vcc, s0, v6
	v_add_u32_e32 v8, 2, v2
	v_mov_b32_e32 v9, v3
	v_addc_co_u32_e32 v7, vcc, v1, v7, vcc
	v_lshlrev_b64 v[8:9], 2, v[8:9]
	;; [unrolled: 5-line block ×5, first 2 shown]
	v_add_co_u32_e32 v14, vcc, s0, v14
	v_add_u32_e32 v2, 6, v2
	v_addc_co_u32_e32 v15, vcc, v1, v15, vcc
	v_lshlrev_b64 v[16:17], 2, v[2:3]
	v_add_co_u32_e32 v16, vcc, s0, v16
	v_addc_co_u32_e32 v17, vcc, v1, v17, vcc
	global_load_dword v2, v[4:5], off
	global_load_dword v18, v[6:7], off
	;; [unrolled: 1-line block ×7, first 2 shown]
	v_mul_u32_u24_e32 v5, 3, v0
	v_lshlrev_b32_e32 v4, 2, v0
	v_lshlrev_b32_e32 v6, 2, v5
	v_mbcnt_lo_u32_b32 v1, -1, 0
	v_mbcnt_hi_u32_b32 v1, -1, v1
	v_and_b32_e32 v7, 63, v1
	v_cmp_ne_u32_e32 vcc, 63, v7
	v_add_u32_e32 v8, 1, v1
	v_add_u32_e32 v9, 2, v1
	;; [unrolled: 1-line block ×4, first 2 shown]
	s_mov_b32 s7, 0
	s_waitcnt vmcnt(5)
	v_add_f32_e32 v2, v2, v18
	s_waitcnt vmcnt(4)
	v_add_f32_e32 v2, v19, v2
	;; [unrolled: 2-line block ×6, first 2 shown]
	ds_write_b32 v4, v2
	s_waitcnt lgkmcnt(0)
	s_barrier
	ds_read2_b32 v[4:5], v6 offset1:1
	ds_read_b32 v2, v6 offset:8
	v_addc_co_u32_e32 v6, vcc, 0, v1, vcc
	v_lshlrev_b32_e32 v6, 2, v6
	s_waitcnt lgkmcnt(1)
	v_add_f32_e32 v4, v4, v5
	s_waitcnt lgkmcnt(0)
	v_add_f32_e32 v2, v4, v2
	ds_bpermute_b32 v4, v6, v2
	v_cmp_gt_u32_e32 vcc, 62, v7
	v_cndmask_b32_e64 v5, 0, 1, vcc
	v_lshlrev_b32_e32 v5, 1, v5
	v_cmp_gt_u32_e32 vcc, 54, v8
	s_waitcnt lgkmcnt(0)
	v_add_f32_e32 v4, v2, v4
	v_add_lshl_u32 v5, v5, v1, 2
	v_cndmask_b32_e32 v2, v2, v4, vcc
	ds_bpermute_b32 v4, v5, v2
	v_cmp_gt_u32_e32 vcc, 60, v7
	v_cndmask_b32_e64 v5, 0, 1, vcc
	v_lshlrev_b32_e32 v5, 2, v5
	v_cmp_gt_u32_e32 vcc, 54, v9
	s_waitcnt lgkmcnt(0)
	v_add_f32_e32 v4, v2, v4
	v_add_lshl_u32 v5, v5, v1, 2
	v_cndmask_b32_e32 v2, v2, v4, vcc
	;; [unrolled: 9-line block ×4, first 2 shown]
	ds_bpermute_b32 v4, v5, v2
	v_cmp_gt_u32_e32 vcc, 32, v7
	v_add_u32_e32 v5, 16, v1
	v_cndmask_b32_e64 v6, 0, 1, vcc
	v_lshlrev_b32_e32 v6, 5, v6
	s_waitcnt lgkmcnt(0)
	v_add_f32_e32 v4, v2, v4
	v_cmp_gt_u32_e32 vcc, 54, v5
	v_cndmask_b32_e32 v2, v2, v4, vcc
	v_add_lshl_u32 v4, v6, v1, 2
	ds_bpermute_b32 v4, v4, v2
	v_cmp_eq_u32_e32 vcc, 0, v0
	s_and_saveexec_b64 s[0:1], vcc
	s_cbranch_execz .LBB85_2
; %bb.1:
	s_lshl_b64 s[0:1], s[6:7], 2
	v_add_u32_e32 v0, 32, v1
	s_add_u32 s0, s2, s0
	s_waitcnt lgkmcnt(0)
	v_add_f32_e32 v1, v2, v4
	v_cmp_gt_u32_e32 vcc, 54, v0
	s_addc_u32 s1, s3, s1
	v_cndmask_b32_e32 v0, v2, v1, vcc
	global_store_dword v3, v0, s[0:1]
.LBB85_2:
	s_endpgm
	.section	.rodata,"a",@progbits
	.p2align	6, 0x0
	.amdhsa_kernel _Z19reduce_array_kernelILj162ELj7ELN6hipcub20BlockReduceAlgorithmE1EfEvPT2_S3_
		.amdhsa_group_segment_fixed_size 648
		.amdhsa_private_segment_fixed_size 0
		.amdhsa_kernarg_size 16
		.amdhsa_user_sgpr_count 6
		.amdhsa_user_sgpr_private_segment_buffer 1
		.amdhsa_user_sgpr_dispatch_ptr 0
		.amdhsa_user_sgpr_queue_ptr 0
		.amdhsa_user_sgpr_kernarg_segment_ptr 1
		.amdhsa_user_sgpr_dispatch_id 0
		.amdhsa_user_sgpr_flat_scratch_init 0
		.amdhsa_user_sgpr_kernarg_preload_length 0
		.amdhsa_user_sgpr_kernarg_preload_offset 0
		.amdhsa_user_sgpr_private_segment_size 0
		.amdhsa_uses_dynamic_stack 0
		.amdhsa_system_sgpr_private_segment_wavefront_offset 0
		.amdhsa_system_sgpr_workgroup_id_x 1
		.amdhsa_system_sgpr_workgroup_id_y 0
		.amdhsa_system_sgpr_workgroup_id_z 0
		.amdhsa_system_sgpr_workgroup_info 0
		.amdhsa_system_vgpr_workitem_id 0
		.amdhsa_next_free_vgpr 24
		.amdhsa_next_free_sgpr 8
		.amdhsa_accum_offset 24
		.amdhsa_reserve_vcc 1
		.amdhsa_reserve_flat_scratch 0
		.amdhsa_float_round_mode_32 0
		.amdhsa_float_round_mode_16_64 0
		.amdhsa_float_denorm_mode_32 3
		.amdhsa_float_denorm_mode_16_64 3
		.amdhsa_dx10_clamp 1
		.amdhsa_ieee_mode 1
		.amdhsa_fp16_overflow 0
		.amdhsa_tg_split 0
		.amdhsa_exception_fp_ieee_invalid_op 0
		.amdhsa_exception_fp_denorm_src 0
		.amdhsa_exception_fp_ieee_div_zero 0
		.amdhsa_exception_fp_ieee_overflow 0
		.amdhsa_exception_fp_ieee_underflow 0
		.amdhsa_exception_fp_ieee_inexact 0
		.amdhsa_exception_int_div_zero 0
	.end_amdhsa_kernel
	.section	.text._Z19reduce_array_kernelILj162ELj7ELN6hipcub20BlockReduceAlgorithmE1EfEvPT2_S3_,"axG",@progbits,_Z19reduce_array_kernelILj162ELj7ELN6hipcub20BlockReduceAlgorithmE1EfEvPT2_S3_,comdat
.Lfunc_end85:
	.size	_Z19reduce_array_kernelILj162ELj7ELN6hipcub20BlockReduceAlgorithmE1EfEvPT2_S3_, .Lfunc_end85-_Z19reduce_array_kernelILj162ELj7ELN6hipcub20BlockReduceAlgorithmE1EfEvPT2_S3_
                                        ; -- End function
	.section	.AMDGPU.csdata,"",@progbits
; Kernel info:
; codeLenInByte = 720
; NumSgprs: 12
; NumVgprs: 24
; NumAgprs: 0
; TotalNumVgprs: 24
; ScratchSize: 0
; MemoryBound: 0
; FloatMode: 240
; IeeeMode: 1
; LDSByteSize: 648 bytes/workgroup (compile time only)
; SGPRBlocks: 1
; VGPRBlocks: 2
; NumSGPRsForWavesPerEU: 12
; NumVGPRsForWavesPerEU: 24
; AccumOffset: 24
; Occupancy: 8
; WaveLimiterHint : 0
; COMPUTE_PGM_RSRC2:SCRATCH_EN: 0
; COMPUTE_PGM_RSRC2:USER_SGPR: 6
; COMPUTE_PGM_RSRC2:TRAP_HANDLER: 0
; COMPUTE_PGM_RSRC2:TGID_X_EN: 1
; COMPUTE_PGM_RSRC2:TGID_Y_EN: 0
; COMPUTE_PGM_RSRC2:TGID_Z_EN: 0
; COMPUTE_PGM_RSRC2:TIDIG_COMP_CNT: 0
; COMPUTE_PGM_RSRC3_GFX90A:ACCUM_OFFSET: 5
; COMPUTE_PGM_RSRC3_GFX90A:TG_SPLIT: 0
	.section	.text._Z19reduce_array_kernelILj65ELj5ELN6hipcub20BlockReduceAlgorithmE1EfEvPT2_S3_,"axG",@progbits,_Z19reduce_array_kernelILj65ELj5ELN6hipcub20BlockReduceAlgorithmE1EfEvPT2_S3_,comdat
	.protected	_Z19reduce_array_kernelILj65ELj5ELN6hipcub20BlockReduceAlgorithmE1EfEvPT2_S3_ ; -- Begin function _Z19reduce_array_kernelILj65ELj5ELN6hipcub20BlockReduceAlgorithmE1EfEvPT2_S3_
	.globl	_Z19reduce_array_kernelILj65ELj5ELN6hipcub20BlockReduceAlgorithmE1EfEvPT2_S3_
	.p2align	8
	.type	_Z19reduce_array_kernelILj65ELj5ELN6hipcub20BlockReduceAlgorithmE1EfEvPT2_S3_,@function
_Z19reduce_array_kernelILj65ELj5ELN6hipcub20BlockReduceAlgorithmE1EfEvPT2_S3_: ; @_Z19reduce_array_kernelILj65ELj5ELN6hipcub20BlockReduceAlgorithmE1EfEvPT2_S3_
; %bb.0:
	s_load_dwordx4 s[0:3], s[4:5], 0x0
	s_mul_i32 s4, s6, 0x41
	v_add_u32_e32 v1, s4, v0
	v_lshl_add_u32 v2, v1, 2, v1
	v_mov_b32_e32 v3, 0
	v_lshlrev_b64 v[4:5], 2, v[2:3]
	s_waitcnt lgkmcnt(0)
	v_mov_b32_e32 v1, s1
	v_add_co_u32_e32 v4, vcc, s0, v4
	v_add_u32_e32 v6, 1, v2
	v_mov_b32_e32 v7, v3
	v_addc_co_u32_e32 v5, vcc, v1, v5, vcc
	v_lshlrev_b64 v[6:7], 2, v[6:7]
	v_add_co_u32_e32 v6, vcc, s0, v6
	v_add_u32_e32 v8, 2, v2
	v_mov_b32_e32 v9, v3
	v_addc_co_u32_e32 v7, vcc, v1, v7, vcc
	v_lshlrev_b64 v[8:9], 2, v[8:9]
	;; [unrolled: 5-line block ×3, first 2 shown]
	v_add_co_u32_e32 v10, vcc, s0, v10
	v_add_u32_e32 v2, 4, v2
	v_addc_co_u32_e32 v11, vcc, v1, v11, vcc
	v_lshlrev_b64 v[2:3], 2, v[2:3]
	v_add_co_u32_e32 v2, vcc, s0, v2
	v_addc_co_u32_e32 v3, vcc, v1, v3, vcc
	global_load_dword v12, v[4:5], off
	global_load_dword v13, v[6:7], off
	;; [unrolled: 1-line block ×5, first 2 shown]
	v_lshlrev_b32_e32 v2, 2, v0
	v_lshlrev_b32_e32 v1, 3, v0
	s_movk_i32 s0, 0x41
	s_waitcnt vmcnt(3)
	v_add_f32_e32 v3, v12, v13
	s_waitcnt vmcnt(2)
	v_add_f32_e32 v3, v14, v3
	;; [unrolled: 2-line block ×4, first 2 shown]
	ds_write_b32 v2, v3
	s_waitcnt lgkmcnt(0)
	s_barrier
	ds_read_b32 v2, v1
	v_lshl_or_b32 v3, v0, 1, 1
	v_cmp_gt_u32_e32 vcc, s0, v3
	s_and_saveexec_b64 s[0:1], vcc
	s_cbranch_execz .LBB86_2
; %bb.1:
	ds_read_b32 v1, v1 offset:4
	s_waitcnt lgkmcnt(0)
	v_add_f32_e32 v2, v2, v1
.LBB86_2:
	s_or_b64 exec, exec, s[0:1]
	v_mbcnt_lo_u32_b32 v1, -1, 0
	v_mbcnt_hi_u32_b32 v1, -1, v1
	v_and_b32_e32 v3, 63, v1
	v_cmp_ne_u32_e32 vcc, 63, v3
	v_addc_co_u32_e32 v4, vcc, 0, v1, vcc
	v_lshlrev_b32_e32 v4, 2, v4
	s_waitcnt lgkmcnt(0)
	ds_bpermute_b32 v4, v4, v2
	v_add_u32_e32 v5, 1, v1
	v_cmp_gt_u32_e32 vcc, 33, v5
	v_add_u32_e32 v5, 2, v1
	s_waitcnt lgkmcnt(0)
	v_add_f32_e32 v4, v2, v4
	v_cndmask_b32_e32 v2, v2, v4, vcc
	v_cmp_gt_u32_e32 vcc, 62, v3
	v_cndmask_b32_e64 v4, 0, 1, vcc
	v_lshlrev_b32_e32 v4, 1, v4
	v_add_lshl_u32 v4, v4, v1, 2
	ds_bpermute_b32 v4, v4, v2
	v_cmp_gt_u32_e32 vcc, 33, v5
	v_add_u32_e32 v5, 4, v1
	s_waitcnt lgkmcnt(0)
	v_add_f32_e32 v4, v2, v4
	v_cndmask_b32_e32 v2, v2, v4, vcc
	v_cmp_gt_u32_e32 vcc, 60, v3
	v_cndmask_b32_e64 v4, 0, 1, vcc
	v_lshlrev_b32_e32 v4, 2, v4
	v_add_lshl_u32 v4, v4, v1, 2
	ds_bpermute_b32 v4, v4, v2
	;; [unrolled: 10-line block ×4, first 2 shown]
	v_cmp_gt_u32_e32 vcc, 33, v5
	s_waitcnt lgkmcnt(0)
	v_add_f32_e32 v4, v2, v4
	v_cndmask_b32_e32 v2, v2, v4, vcc
	v_cmp_gt_u32_e32 vcc, 32, v3
	v_cndmask_b32_e64 v3, 0, 1, vcc
	v_lshlrev_b32_e32 v3, 5, v3
	v_add_lshl_u32 v3, v3, v1, 2
	ds_bpermute_b32 v3, v3, v2
	v_cmp_eq_u32_e32 vcc, 0, v0
	s_and_saveexec_b64 s[0:1], vcc
	s_cbranch_execz .LBB86_4
; %bb.3:
	s_mov_b32 s7, 0
	s_lshl_b64 s[0:1], s[6:7], 2
	v_add_u32_e32 v1, 32, v1
	s_add_u32 s0, s2, s0
	s_waitcnt lgkmcnt(0)
	v_add_f32_e32 v3, v2, v3
	v_cmp_gt_u32_e32 vcc, 33, v1
	s_addc_u32 s1, s3, s1
	v_mov_b32_e32 v0, 0
	v_cndmask_b32_e32 v1, v2, v3, vcc
	global_store_dword v0, v1, s[0:1]
.LBB86_4:
	s_endpgm
	.section	.rodata,"a",@progbits
	.p2align	6, 0x0
	.amdhsa_kernel _Z19reduce_array_kernelILj65ELj5ELN6hipcub20BlockReduceAlgorithmE1EfEvPT2_S3_
		.amdhsa_group_segment_fixed_size 260
		.amdhsa_private_segment_fixed_size 0
		.amdhsa_kernarg_size 16
		.amdhsa_user_sgpr_count 6
		.amdhsa_user_sgpr_private_segment_buffer 1
		.amdhsa_user_sgpr_dispatch_ptr 0
		.amdhsa_user_sgpr_queue_ptr 0
		.amdhsa_user_sgpr_kernarg_segment_ptr 1
		.amdhsa_user_sgpr_dispatch_id 0
		.amdhsa_user_sgpr_flat_scratch_init 0
		.amdhsa_user_sgpr_kernarg_preload_length 0
		.amdhsa_user_sgpr_kernarg_preload_offset 0
		.amdhsa_user_sgpr_private_segment_size 0
		.amdhsa_uses_dynamic_stack 0
		.amdhsa_system_sgpr_private_segment_wavefront_offset 0
		.amdhsa_system_sgpr_workgroup_id_x 1
		.amdhsa_system_sgpr_workgroup_id_y 0
		.amdhsa_system_sgpr_workgroup_id_z 0
		.amdhsa_system_sgpr_workgroup_info 0
		.amdhsa_system_vgpr_workitem_id 0
		.amdhsa_next_free_vgpr 17
		.amdhsa_next_free_sgpr 8
		.amdhsa_accum_offset 20
		.amdhsa_reserve_vcc 1
		.amdhsa_reserve_flat_scratch 0
		.amdhsa_float_round_mode_32 0
		.amdhsa_float_round_mode_16_64 0
		.amdhsa_float_denorm_mode_32 3
		.amdhsa_float_denorm_mode_16_64 3
		.amdhsa_dx10_clamp 1
		.amdhsa_ieee_mode 1
		.amdhsa_fp16_overflow 0
		.amdhsa_tg_split 0
		.amdhsa_exception_fp_ieee_invalid_op 0
		.amdhsa_exception_fp_denorm_src 0
		.amdhsa_exception_fp_ieee_div_zero 0
		.amdhsa_exception_fp_ieee_overflow 0
		.amdhsa_exception_fp_ieee_underflow 0
		.amdhsa_exception_fp_ieee_inexact 0
		.amdhsa_exception_int_div_zero 0
	.end_amdhsa_kernel
	.section	.text._Z19reduce_array_kernelILj65ELj5ELN6hipcub20BlockReduceAlgorithmE1EfEvPT2_S3_,"axG",@progbits,_Z19reduce_array_kernelILj65ELj5ELN6hipcub20BlockReduceAlgorithmE1EfEvPT2_S3_,comdat
.Lfunc_end86:
	.size	_Z19reduce_array_kernelILj65ELj5ELN6hipcub20BlockReduceAlgorithmE1EfEvPT2_S3_, .Lfunc_end86-_Z19reduce_array_kernelILj65ELj5ELN6hipcub20BlockReduceAlgorithmE1EfEvPT2_S3_
                                        ; -- End function
	.section	.AMDGPU.csdata,"",@progbits
; Kernel info:
; codeLenInByte = 664
; NumSgprs: 12
; NumVgprs: 17
; NumAgprs: 0
; TotalNumVgprs: 17
; ScratchSize: 0
; MemoryBound: 0
; FloatMode: 240
; IeeeMode: 1
; LDSByteSize: 260 bytes/workgroup (compile time only)
; SGPRBlocks: 1
; VGPRBlocks: 2
; NumSGPRsForWavesPerEU: 12
; NumVGPRsForWavesPerEU: 17
; AccumOffset: 20
; Occupancy: 8
; WaveLimiterHint : 0
; COMPUTE_PGM_RSRC2:SCRATCH_EN: 0
; COMPUTE_PGM_RSRC2:USER_SGPR: 6
; COMPUTE_PGM_RSRC2:TRAP_HANDLER: 0
; COMPUTE_PGM_RSRC2:TGID_X_EN: 1
; COMPUTE_PGM_RSRC2:TGID_Y_EN: 0
; COMPUTE_PGM_RSRC2:TGID_Z_EN: 0
; COMPUTE_PGM_RSRC2:TIDIG_COMP_CNT: 0
; COMPUTE_PGM_RSRC3_GFX90A:ACCUM_OFFSET: 4
; COMPUTE_PGM_RSRC3_GFX90A:TG_SPLIT: 0
	.section	.text._Z19reduce_array_kernelILj37ELj2ELN6hipcub20BlockReduceAlgorithmE1EfEvPT2_S3_,"axG",@progbits,_Z19reduce_array_kernelILj37ELj2ELN6hipcub20BlockReduceAlgorithmE1EfEvPT2_S3_,comdat
	.protected	_Z19reduce_array_kernelILj37ELj2ELN6hipcub20BlockReduceAlgorithmE1EfEvPT2_S3_ ; -- Begin function _Z19reduce_array_kernelILj37ELj2ELN6hipcub20BlockReduceAlgorithmE1EfEvPT2_S3_
	.globl	_Z19reduce_array_kernelILj37ELj2ELN6hipcub20BlockReduceAlgorithmE1EfEvPT2_S3_
	.p2align	8
	.type	_Z19reduce_array_kernelILj37ELj2ELN6hipcub20BlockReduceAlgorithmE1EfEvPT2_S3_,@function
_Z19reduce_array_kernelILj37ELj2ELN6hipcub20BlockReduceAlgorithmE1EfEvPT2_S3_: ; @_Z19reduce_array_kernelILj37ELj2ELN6hipcub20BlockReduceAlgorithmE1EfEvPT2_S3_
; %bb.0:
	s_load_dwordx4 s[0:3], s[4:5], 0x0
	s_mul_i32 s4, s6, 37
	v_add_lshl_u32 v2, s4, v0, 1
	v_mov_b32_e32 v3, 0
	v_lshlrev_b64 v[4:5], 2, v[2:3]
	s_waitcnt lgkmcnt(0)
	v_mov_b32_e32 v1, s1
	v_add_co_u32_e32 v4, vcc, s0, v4
	v_addc_co_u32_e32 v5, vcc, v1, v5, vcc
	global_load_dwordx2 v[4:5], v[4:5], off
	v_mbcnt_lo_u32_b32 v1, -1, 0
	v_lshlrev_b32_e32 v2, 2, v0
	v_mbcnt_hi_u32_b32 v1, -1, v1
	v_and_b32_e32 v6, 63, v1
	v_cmp_ne_u32_e32 vcc, 63, v6
	v_add_u32_e32 v7, 1, v1
	v_add_u32_e32 v8, 2, v1
	;; [unrolled: 1-line block ×4, first 2 shown]
	s_mov_b32 s7, 0
	s_waitcnt vmcnt(0)
	v_add_f32_e32 v4, v4, v5
	ds_write_b32 v2, v4
	s_waitcnt lgkmcnt(0)
	; wave barrier
	s_waitcnt lgkmcnt(0)
	ds_read_b32 v2, v2
	v_addc_co_u32_e32 v4, vcc, 0, v1, vcc
	v_lshlrev_b32_e32 v4, 2, v4
	v_cmp_gt_u32_e32 vcc, 62, v6
	s_waitcnt lgkmcnt(0)
	ds_bpermute_b32 v4, v4, v2
	v_cndmask_b32_e64 v5, 0, 1, vcc
	v_lshlrev_b32_e32 v5, 1, v5
	v_cmp_gt_u32_e32 vcc, 37, v7
	v_add_lshl_u32 v5, v5, v1, 2
	s_waitcnt lgkmcnt(0)
	v_add_f32_e32 v4, v2, v4
	v_cndmask_b32_e32 v2, v2, v4, vcc
	ds_bpermute_b32 v4, v5, v2
	v_cmp_gt_u32_e32 vcc, 60, v6
	v_cndmask_b32_e64 v5, 0, 1, vcc
	v_lshlrev_b32_e32 v5, 2, v5
	v_cmp_gt_u32_e32 vcc, 37, v8
	s_waitcnt lgkmcnt(0)
	v_add_f32_e32 v4, v2, v4
	v_add_lshl_u32 v5, v5, v1, 2
	v_cndmask_b32_e32 v2, v2, v4, vcc
	ds_bpermute_b32 v4, v5, v2
	v_cmp_gt_u32_e32 vcc, 56, v6
	v_cndmask_b32_e64 v5, 0, 1, vcc
	v_lshlrev_b32_e32 v5, 3, v5
	v_cmp_gt_u32_e32 vcc, 37, v9
	s_waitcnt lgkmcnt(0)
	v_add_f32_e32 v4, v2, v4
	v_add_lshl_u32 v5, v5, v1, 2
	;; [unrolled: 9-line block ×3, first 2 shown]
	v_cndmask_b32_e32 v2, v2, v4, vcc
	ds_bpermute_b32 v4, v5, v2
	v_cmp_gt_u32_e32 vcc, 32, v6
	v_add_u32_e32 v5, 16, v1
	v_cndmask_b32_e64 v6, 0, 1, vcc
	v_lshlrev_b32_e32 v6, 5, v6
	s_waitcnt lgkmcnt(0)
	v_add_f32_e32 v4, v2, v4
	v_cmp_gt_u32_e32 vcc, 37, v5
	v_cndmask_b32_e32 v2, v2, v4, vcc
	v_add_lshl_u32 v4, v6, v1, 2
	ds_bpermute_b32 v4, v4, v2
	v_cmp_eq_u32_e32 vcc, 0, v0
	s_and_saveexec_b64 s[0:1], vcc
	s_cbranch_execz .LBB87_2
; %bb.1:
	s_lshl_b64 s[0:1], s[6:7], 2
	v_add_u32_e32 v0, 32, v1
	s_add_u32 s0, s2, s0
	s_waitcnt lgkmcnt(0)
	v_add_f32_e32 v1, v2, v4
	v_cmp_gt_u32_e32 vcc, 37, v0
	s_addc_u32 s1, s3, s1
	v_cndmask_b32_e32 v0, v2, v1, vcc
	global_store_dword v3, v0, s[0:1]
.LBB87_2:
	s_endpgm
	.section	.rodata,"a",@progbits
	.p2align	6, 0x0
	.amdhsa_kernel _Z19reduce_array_kernelILj37ELj2ELN6hipcub20BlockReduceAlgorithmE1EfEvPT2_S3_
		.amdhsa_group_segment_fixed_size 148
		.amdhsa_private_segment_fixed_size 0
		.amdhsa_kernarg_size 16
		.amdhsa_user_sgpr_count 6
		.amdhsa_user_sgpr_private_segment_buffer 1
		.amdhsa_user_sgpr_dispatch_ptr 0
		.amdhsa_user_sgpr_queue_ptr 0
		.amdhsa_user_sgpr_kernarg_segment_ptr 1
		.amdhsa_user_sgpr_dispatch_id 0
		.amdhsa_user_sgpr_flat_scratch_init 0
		.amdhsa_user_sgpr_kernarg_preload_length 0
		.amdhsa_user_sgpr_kernarg_preload_offset 0
		.amdhsa_user_sgpr_private_segment_size 0
		.amdhsa_uses_dynamic_stack 0
		.amdhsa_system_sgpr_private_segment_wavefront_offset 0
		.amdhsa_system_sgpr_workgroup_id_x 1
		.amdhsa_system_sgpr_workgroup_id_y 0
		.amdhsa_system_sgpr_workgroup_id_z 0
		.amdhsa_system_sgpr_workgroup_info 0
		.amdhsa_system_vgpr_workitem_id 0
		.amdhsa_next_free_vgpr 11
		.amdhsa_next_free_sgpr 8
		.amdhsa_accum_offset 12
		.amdhsa_reserve_vcc 1
		.amdhsa_reserve_flat_scratch 0
		.amdhsa_float_round_mode_32 0
		.amdhsa_float_round_mode_16_64 0
		.amdhsa_float_denorm_mode_32 3
		.amdhsa_float_denorm_mode_16_64 3
		.amdhsa_dx10_clamp 1
		.amdhsa_ieee_mode 1
		.amdhsa_fp16_overflow 0
		.amdhsa_tg_split 0
		.amdhsa_exception_fp_ieee_invalid_op 0
		.amdhsa_exception_fp_denorm_src 0
		.amdhsa_exception_fp_ieee_div_zero 0
		.amdhsa_exception_fp_ieee_overflow 0
		.amdhsa_exception_fp_ieee_underflow 0
		.amdhsa_exception_fp_ieee_inexact 0
		.amdhsa_exception_int_div_zero 0
	.end_amdhsa_kernel
	.section	.text._Z19reduce_array_kernelILj37ELj2ELN6hipcub20BlockReduceAlgorithmE1EfEvPT2_S3_,"axG",@progbits,_Z19reduce_array_kernelILj37ELj2ELN6hipcub20BlockReduceAlgorithmE1EfEvPT2_S3_,comdat
.Lfunc_end87:
	.size	_Z19reduce_array_kernelILj37ELj2ELN6hipcub20BlockReduceAlgorithmE1EfEvPT2_S3_, .Lfunc_end87-_Z19reduce_array_kernelILj37ELj2ELN6hipcub20BlockReduceAlgorithmE1EfEvPT2_S3_
                                        ; -- End function
	.section	.AMDGPU.csdata,"",@progbits
; Kernel info:
; codeLenInByte = 456
; NumSgprs: 12
; NumVgprs: 11
; NumAgprs: 0
; TotalNumVgprs: 11
; ScratchSize: 0
; MemoryBound: 0
; FloatMode: 240
; IeeeMode: 1
; LDSByteSize: 148 bytes/workgroup (compile time only)
; SGPRBlocks: 1
; VGPRBlocks: 1
; NumSGPRsForWavesPerEU: 12
; NumVGPRsForWavesPerEU: 11
; AccumOffset: 12
; Occupancy: 8
; WaveLimiterHint : 0
; COMPUTE_PGM_RSRC2:SCRATCH_EN: 0
; COMPUTE_PGM_RSRC2:USER_SGPR: 6
; COMPUTE_PGM_RSRC2:TRAP_HANDLER: 0
; COMPUTE_PGM_RSRC2:TGID_X_EN: 1
; COMPUTE_PGM_RSRC2:TGID_Y_EN: 0
; COMPUTE_PGM_RSRC2:TGID_Z_EN: 0
; COMPUTE_PGM_RSRC2:TIDIG_COMP_CNT: 0
; COMPUTE_PGM_RSRC3_GFX90A:ACCUM_OFFSET: 2
; COMPUTE_PGM_RSRC3_GFX90A:TG_SPLIT: 0
	.section	.text._Z19reduce_array_kernelILj1024ELj1ELN6hipcub20BlockReduceAlgorithmE1EfEvPT2_S3_,"axG",@progbits,_Z19reduce_array_kernelILj1024ELj1ELN6hipcub20BlockReduceAlgorithmE1EfEvPT2_S3_,comdat
	.protected	_Z19reduce_array_kernelILj1024ELj1ELN6hipcub20BlockReduceAlgorithmE1EfEvPT2_S3_ ; -- Begin function _Z19reduce_array_kernelILj1024ELj1ELN6hipcub20BlockReduceAlgorithmE1EfEvPT2_S3_
	.globl	_Z19reduce_array_kernelILj1024ELj1ELN6hipcub20BlockReduceAlgorithmE1EfEvPT2_S3_
	.p2align	8
	.type	_Z19reduce_array_kernelILj1024ELj1ELN6hipcub20BlockReduceAlgorithmE1EfEvPT2_S3_,@function
_Z19reduce_array_kernelILj1024ELj1ELN6hipcub20BlockReduceAlgorithmE1EfEvPT2_S3_: ; @_Z19reduce_array_kernelILj1024ELj1ELN6hipcub20BlockReduceAlgorithmE1EfEvPT2_S3_
; %bb.0:
	s_load_dwordx4 s[0:3], s[4:5], 0x0
	v_lshl_or_b32 v2, s6, 10, v0
	v_mov_b32_e32 v3, 0
	v_lshlrev_b64 v[4:5], 2, v[2:3]
	v_lshlrev_b32_e32 v18, 6, v0
	s_waitcnt lgkmcnt(0)
	v_mov_b32_e32 v1, s1
	v_add_co_u32_e32 v4, vcc, s0, v4
	v_addc_co_u32_e32 v5, vcc, v1, v5, vcc
	global_load_dword v1, v[4:5], off
	v_lshlrev_b32_e32 v4, 2, v0
	v_mbcnt_lo_u32_b32 v2, -1, 0
	v_bfrev_b32_e32 v20, 0.5
	v_mbcnt_hi_u32_b32 v2, -1, v2
	v_lshl_or_b32 v2, v2, 2, v20
	s_mov_b32 s7, 0
	v_cmp_eq_u32_e32 vcc, 0, v0
	s_waitcnt vmcnt(0)
	ds_write_b32 v4, v1
	s_waitcnt lgkmcnt(0)
	s_barrier
	ds_read2_b32 v[4:5], v18 offset1:1
	ds_read2_b32 v[6:7], v18 offset0:2 offset1:3
	ds_read2_b32 v[8:9], v18 offset0:4 offset1:5
	;; [unrolled: 1-line block ×7, first 2 shown]
	s_waitcnt lgkmcnt(7)
	v_add_f32_e32 v1, v4, v5
	s_waitcnt lgkmcnt(6)
	v_add_f32_e32 v1, v1, v6
	v_add_f32_e32 v1, v1, v7
	s_waitcnt lgkmcnt(5)
	v_add_f32_e32 v1, v1, v8
	;; [unrolled: 3-line block ×7, first 2 shown]
	v_add_f32_e32 v1, v1, v19
	s_nop 1
	v_mov_b32_dpp v4, v1 quad_perm:[1,0,3,2] row_mask:0xf bank_mask:0xf
	v_add_f32_e32 v1, v1, v4
	s_nop 1
	v_mov_b32_dpp v4, v1 quad_perm:[2,3,0,1] row_mask:0xf bank_mask:0xf
	v_add_f32_e32 v1, v1, v4
	s_nop 1
	v_mov_b32_dpp v4, v1 row_ror:4 row_mask:0xf bank_mask:0xf
	v_add_f32_e32 v1, v1, v4
	s_nop 1
	v_mov_b32_dpp v4, v1 row_ror:8 row_mask:0xf bank_mask:0xf
	v_add_f32_e32 v1, v1, v4
	s_nop 1
	v_mov_b32_dpp v4, v1 row_bcast:15 row_mask:0xf bank_mask:0xf
	v_add_f32_e32 v1, v1, v4
	s_nop 1
	v_mov_b32_dpp v4, v1 row_bcast:31 row_mask:0xf bank_mask:0xf
	v_add_f32_e32 v1, v1, v4
	ds_bpermute_b32 v1, v2, v1
	s_and_saveexec_b64 s[0:1], vcc
	s_cbranch_execz .LBB88_2
; %bb.1:
	s_lshl_b64 s[0:1], s[6:7], 2
	s_add_u32 s0, s2, s0
	s_addc_u32 s1, s3, s1
	s_waitcnt lgkmcnt(0)
	global_store_dword v3, v1, s[0:1]
.LBB88_2:
	s_endpgm
	.section	.rodata,"a",@progbits
	.p2align	6, 0x0
	.amdhsa_kernel _Z19reduce_array_kernelILj1024ELj1ELN6hipcub20BlockReduceAlgorithmE1EfEvPT2_S3_
		.amdhsa_group_segment_fixed_size 4096
		.amdhsa_private_segment_fixed_size 0
		.amdhsa_kernarg_size 16
		.amdhsa_user_sgpr_count 6
		.amdhsa_user_sgpr_private_segment_buffer 1
		.amdhsa_user_sgpr_dispatch_ptr 0
		.amdhsa_user_sgpr_queue_ptr 0
		.amdhsa_user_sgpr_kernarg_segment_ptr 1
		.amdhsa_user_sgpr_dispatch_id 0
		.amdhsa_user_sgpr_flat_scratch_init 0
		.amdhsa_user_sgpr_kernarg_preload_length 0
		.amdhsa_user_sgpr_kernarg_preload_offset 0
		.amdhsa_user_sgpr_private_segment_size 0
		.amdhsa_uses_dynamic_stack 0
		.amdhsa_system_sgpr_private_segment_wavefront_offset 0
		.amdhsa_system_sgpr_workgroup_id_x 1
		.amdhsa_system_sgpr_workgroup_id_y 0
		.amdhsa_system_sgpr_workgroup_id_z 0
		.amdhsa_system_sgpr_workgroup_info 0
		.amdhsa_system_vgpr_workitem_id 0
		.amdhsa_next_free_vgpr 21
		.amdhsa_next_free_sgpr 8
		.amdhsa_accum_offset 24
		.amdhsa_reserve_vcc 1
		.amdhsa_reserve_flat_scratch 0
		.amdhsa_float_round_mode_32 0
		.amdhsa_float_round_mode_16_64 0
		.amdhsa_float_denorm_mode_32 3
		.amdhsa_float_denorm_mode_16_64 3
		.amdhsa_dx10_clamp 1
		.amdhsa_ieee_mode 1
		.amdhsa_fp16_overflow 0
		.amdhsa_tg_split 0
		.amdhsa_exception_fp_ieee_invalid_op 0
		.amdhsa_exception_fp_denorm_src 0
		.amdhsa_exception_fp_ieee_div_zero 0
		.amdhsa_exception_fp_ieee_overflow 0
		.amdhsa_exception_fp_ieee_underflow 0
		.amdhsa_exception_fp_ieee_inexact 0
		.amdhsa_exception_int_div_zero 0
	.end_amdhsa_kernel
	.section	.text._Z19reduce_array_kernelILj1024ELj1ELN6hipcub20BlockReduceAlgorithmE1EfEvPT2_S3_,"axG",@progbits,_Z19reduce_array_kernelILj1024ELj1ELN6hipcub20BlockReduceAlgorithmE1EfEvPT2_S3_,comdat
.Lfunc_end88:
	.size	_Z19reduce_array_kernelILj1024ELj1ELN6hipcub20BlockReduceAlgorithmE1EfEvPT2_S3_, .Lfunc_end88-_Z19reduce_array_kernelILj1024ELj1ELN6hipcub20BlockReduceAlgorithmE1EfEvPT2_S3_
                                        ; -- End function
	.section	.AMDGPU.csdata,"",@progbits
; Kernel info:
; codeLenInByte = 412
; NumSgprs: 12
; NumVgprs: 21
; NumAgprs: 0
; TotalNumVgprs: 21
; ScratchSize: 0
; MemoryBound: 0
; FloatMode: 240
; IeeeMode: 1
; LDSByteSize: 4096 bytes/workgroup (compile time only)
; SGPRBlocks: 1
; VGPRBlocks: 2
; NumSGPRsForWavesPerEU: 12
; NumVGPRsForWavesPerEU: 21
; AccumOffset: 24
; Occupancy: 8
; WaveLimiterHint : 0
; COMPUTE_PGM_RSRC2:SCRATCH_EN: 0
; COMPUTE_PGM_RSRC2:USER_SGPR: 6
; COMPUTE_PGM_RSRC2:TRAP_HANDLER: 0
; COMPUTE_PGM_RSRC2:TGID_X_EN: 1
; COMPUTE_PGM_RSRC2:TGID_Y_EN: 0
; COMPUTE_PGM_RSRC2:TGID_Z_EN: 0
; COMPUTE_PGM_RSRC2:TIDIG_COMP_CNT: 0
; COMPUTE_PGM_RSRC3_GFX90A:ACCUM_OFFSET: 5
; COMPUTE_PGM_RSRC3_GFX90A:TG_SPLIT: 0
	.section	.text._Z19reduce_array_kernelILj512ELj4ELN6hipcub20BlockReduceAlgorithmE1EjEvPT2_S3_,"axG",@progbits,_Z19reduce_array_kernelILj512ELj4ELN6hipcub20BlockReduceAlgorithmE1EjEvPT2_S3_,comdat
	.protected	_Z19reduce_array_kernelILj512ELj4ELN6hipcub20BlockReduceAlgorithmE1EjEvPT2_S3_ ; -- Begin function _Z19reduce_array_kernelILj512ELj4ELN6hipcub20BlockReduceAlgorithmE1EjEvPT2_S3_
	.globl	_Z19reduce_array_kernelILj512ELj4ELN6hipcub20BlockReduceAlgorithmE1EjEvPT2_S3_
	.p2align	8
	.type	_Z19reduce_array_kernelILj512ELj4ELN6hipcub20BlockReduceAlgorithmE1EjEvPT2_S3_,@function
_Z19reduce_array_kernelILj512ELj4ELN6hipcub20BlockReduceAlgorithmE1EjEvPT2_S3_: ; @_Z19reduce_array_kernelILj512ELj4ELN6hipcub20BlockReduceAlgorithmE1EjEvPT2_S3_
; %bb.0:
	s_load_dwordx4 s[0:3], s[4:5], 0x0
	v_lshlrev_b32_e32 v1, 2, v0
	v_lshl_or_b32 v2, s6, 11, v1
	v_mov_b32_e32 v3, 0
	v_lshlrev_b64 v[4:5], 2, v[2:3]
	s_waitcnt lgkmcnt(0)
	v_mov_b32_e32 v2, s1
	v_add_co_u32_e32 v4, vcc, s0, v4
	v_addc_co_u32_e32 v5, vcc, v2, v5, vcc
	global_load_dwordx4 v[4:7], v[4:5], off
	v_lshlrev_b32_e32 v10, 5, v0
	v_mbcnt_lo_u32_b32 v2, -1, 0
	v_bfrev_b32_e32 v12, 0.5
	s_mov_b32 s7, 0
	v_cmp_eq_u32_e32 vcc, 0, v0
	s_waitcnt vmcnt(0)
	v_add_u32_e32 v5, v5, v7
	v_add3_u32 v4, v4, v6, v5
	ds_write_b32 v1, v4
	s_waitcnt lgkmcnt(0)
	s_barrier
	ds_read2_b32 v[4:5], v10 offset1:1
	ds_read2_b32 v[6:7], v10 offset0:2 offset1:3
	ds_read2_b32 v[8:9], v10 offset0:4 offset1:5
	;; [unrolled: 1-line block ×3, first 2 shown]
	v_mbcnt_hi_u32_b32 v1, -1, v2
	s_waitcnt lgkmcnt(3)
	v_add_u32_e32 v2, v5, v4
	s_waitcnt lgkmcnt(2)
	v_add3_u32 v2, v2, v6, v7
	s_waitcnt lgkmcnt(1)
	v_add3_u32 v2, v2, v8, v9
	;; [unrolled: 2-line block ×3, first 2 shown]
	v_lshl_or_b32 v1, v1, 2, v12
	s_nop 0
	v_mov_b32_dpp v4, v2 quad_perm:[1,0,3,2] row_mask:0xf bank_mask:0xf
	v_add_u32_e32 v2, v4, v2
	s_nop 1
	v_mov_b32_dpp v4, v2 quad_perm:[2,3,0,1] row_mask:0xf bank_mask:0xf
	v_add_u32_e32 v2, v2, v4
	s_nop 1
	v_mov_b32_dpp v4, v2 row_ror:4 row_mask:0xf bank_mask:0xf
	v_add_u32_e32 v2, v2, v4
	s_nop 1
	v_mov_b32_dpp v4, v2 row_ror:8 row_mask:0xf bank_mask:0xf
	v_add_u32_e32 v2, v2, v4
	s_nop 1
	v_mov_b32_dpp v4, v2 row_bcast:15 row_mask:0xf bank_mask:0xf
	v_add_u32_e32 v2, v2, v4
	s_nop 1
	v_mov_b32_dpp v4, v2 row_bcast:31 row_mask:0xf bank_mask:0xf
	v_add_u32_e32 v2, v2, v4
	ds_bpermute_b32 v1, v1, v2
	s_and_saveexec_b64 s[0:1], vcc
	s_cbranch_execz .LBB89_2
; %bb.1:
	s_lshl_b64 s[0:1], s[6:7], 2
	s_add_u32 s0, s2, s0
	s_addc_u32 s1, s3, s1
	s_waitcnt lgkmcnt(0)
	global_store_dword v3, v1, s[0:1]
.LBB89_2:
	s_endpgm
	.section	.rodata,"a",@progbits
	.p2align	6, 0x0
	.amdhsa_kernel _Z19reduce_array_kernelILj512ELj4ELN6hipcub20BlockReduceAlgorithmE1EjEvPT2_S3_
		.amdhsa_group_segment_fixed_size 2048
		.amdhsa_private_segment_fixed_size 0
		.amdhsa_kernarg_size 16
		.amdhsa_user_sgpr_count 6
		.amdhsa_user_sgpr_private_segment_buffer 1
		.amdhsa_user_sgpr_dispatch_ptr 0
		.amdhsa_user_sgpr_queue_ptr 0
		.amdhsa_user_sgpr_kernarg_segment_ptr 1
		.amdhsa_user_sgpr_dispatch_id 0
		.amdhsa_user_sgpr_flat_scratch_init 0
		.amdhsa_user_sgpr_kernarg_preload_length 0
		.amdhsa_user_sgpr_kernarg_preload_offset 0
		.amdhsa_user_sgpr_private_segment_size 0
		.amdhsa_uses_dynamic_stack 0
		.amdhsa_system_sgpr_private_segment_wavefront_offset 0
		.amdhsa_system_sgpr_workgroup_id_x 1
		.amdhsa_system_sgpr_workgroup_id_y 0
		.amdhsa_system_sgpr_workgroup_id_z 0
		.amdhsa_system_sgpr_workgroup_info 0
		.amdhsa_system_vgpr_workitem_id 0
		.amdhsa_next_free_vgpr 13
		.amdhsa_next_free_sgpr 8
		.amdhsa_accum_offset 16
		.amdhsa_reserve_vcc 1
		.amdhsa_reserve_flat_scratch 0
		.amdhsa_float_round_mode_32 0
		.amdhsa_float_round_mode_16_64 0
		.amdhsa_float_denorm_mode_32 3
		.amdhsa_float_denorm_mode_16_64 3
		.amdhsa_dx10_clamp 1
		.amdhsa_ieee_mode 1
		.amdhsa_fp16_overflow 0
		.amdhsa_tg_split 0
		.amdhsa_exception_fp_ieee_invalid_op 0
		.amdhsa_exception_fp_denorm_src 0
		.amdhsa_exception_fp_ieee_div_zero 0
		.amdhsa_exception_fp_ieee_overflow 0
		.amdhsa_exception_fp_ieee_underflow 0
		.amdhsa_exception_fp_ieee_inexact 0
		.amdhsa_exception_int_div_zero 0
	.end_amdhsa_kernel
	.section	.text._Z19reduce_array_kernelILj512ELj4ELN6hipcub20BlockReduceAlgorithmE1EjEvPT2_S3_,"axG",@progbits,_Z19reduce_array_kernelILj512ELj4ELN6hipcub20BlockReduceAlgorithmE1EjEvPT2_S3_,comdat
.Lfunc_end89:
	.size	_Z19reduce_array_kernelILj512ELj4ELN6hipcub20BlockReduceAlgorithmE1EjEvPT2_S3_, .Lfunc_end89-_Z19reduce_array_kernelILj512ELj4ELN6hipcub20BlockReduceAlgorithmE1EjEvPT2_S3_
                                        ; -- End function
	.section	.AMDGPU.csdata,"",@progbits
; Kernel info:
; codeLenInByte = 344
; NumSgprs: 12
; NumVgprs: 13
; NumAgprs: 0
; TotalNumVgprs: 13
; ScratchSize: 0
; MemoryBound: 0
; FloatMode: 240
; IeeeMode: 1
; LDSByteSize: 2048 bytes/workgroup (compile time only)
; SGPRBlocks: 1
; VGPRBlocks: 1
; NumSGPRsForWavesPerEU: 12
; NumVGPRsForWavesPerEU: 13
; AccumOffset: 16
; Occupancy: 8
; WaveLimiterHint : 0
; COMPUTE_PGM_RSRC2:SCRATCH_EN: 0
; COMPUTE_PGM_RSRC2:USER_SGPR: 6
; COMPUTE_PGM_RSRC2:TRAP_HANDLER: 0
; COMPUTE_PGM_RSRC2:TGID_X_EN: 1
; COMPUTE_PGM_RSRC2:TGID_Y_EN: 0
; COMPUTE_PGM_RSRC2:TGID_Z_EN: 0
; COMPUTE_PGM_RSRC2:TIDIG_COMP_CNT: 0
; COMPUTE_PGM_RSRC3_GFX90A:ACCUM_OFFSET: 3
; COMPUTE_PGM_RSRC3_GFX90A:TG_SPLIT: 0
	.section	.text._Z19reduce_array_kernelILj256ELj3ELN6hipcub20BlockReduceAlgorithmE1EiEvPT2_S3_,"axG",@progbits,_Z19reduce_array_kernelILj256ELj3ELN6hipcub20BlockReduceAlgorithmE1EiEvPT2_S3_,comdat
	.protected	_Z19reduce_array_kernelILj256ELj3ELN6hipcub20BlockReduceAlgorithmE1EiEvPT2_S3_ ; -- Begin function _Z19reduce_array_kernelILj256ELj3ELN6hipcub20BlockReduceAlgorithmE1EiEvPT2_S3_
	.globl	_Z19reduce_array_kernelILj256ELj3ELN6hipcub20BlockReduceAlgorithmE1EiEvPT2_S3_
	.p2align	8
	.type	_Z19reduce_array_kernelILj256ELj3ELN6hipcub20BlockReduceAlgorithmE1EiEvPT2_S3_,@function
_Z19reduce_array_kernelILj256ELj3ELN6hipcub20BlockReduceAlgorithmE1EiEvPT2_S3_: ; @_Z19reduce_array_kernelILj256ELj3ELN6hipcub20BlockReduceAlgorithmE1EiEvPT2_S3_
; %bb.0:
	s_load_dwordx4 s[0:3], s[4:5], 0x0
	v_lshl_or_b32 v1, s6, 8, v0
	v_lshl_add_u32 v2, v1, 1, v1
	v_mov_b32_e32 v3, 0
	v_lshlrev_b64 v[4:5], 2, v[2:3]
	s_waitcnt lgkmcnt(0)
	v_mov_b32_e32 v1, s1
	v_add_co_u32_e32 v4, vcc, s0, v4
	v_add_u32_e32 v6, 1, v2
	v_mov_b32_e32 v7, v3
	v_addc_co_u32_e32 v5, vcc, v1, v5, vcc
	v_lshlrev_b64 v[6:7], 2, v[6:7]
	v_add_co_u32_e32 v6, vcc, s0, v6
	v_add_u32_e32 v2, 2, v2
	v_addc_co_u32_e32 v7, vcc, v1, v7, vcc
	v_lshlrev_b64 v[8:9], 2, v[2:3]
	v_add_co_u32_e32 v8, vcc, s0, v8
	v_addc_co_u32_e32 v9, vcc, v1, v9, vcc
	global_load_dword v1, v[4:5], off
	global_load_dword v2, v[6:7], off
	;; [unrolled: 1-line block ×3, first 2 shown]
	v_lshlrev_b32_e32 v4, 2, v0
	v_lshlrev_b32_e32 v6, 4, v0
	s_mov_b32 s7, 0
	v_cmp_eq_u32_e32 vcc, 0, v0
	s_waitcnt vmcnt(0)
	v_add3_u32 v1, v2, v1, v10
	ds_write_b32 v4, v1
	s_waitcnt lgkmcnt(0)
	s_barrier
	ds_read2_b32 v[4:5], v6 offset1:1
	ds_read2_b32 v[6:7], v6 offset0:2 offset1:3
	v_mbcnt_lo_u32_b32 v1, -1, 0
	v_bfrev_b32_e32 v2, 0.5
	v_mbcnt_hi_u32_b32 v1, -1, v1
	s_waitcnt lgkmcnt(1)
	v_add_u32_e32 v4, v5, v4
	s_waitcnt lgkmcnt(0)
	v_add3_u32 v4, v4, v6, v7
	v_lshl_or_b32 v1, v1, 2, v2
	s_nop 0
	v_mov_b32_dpp v5, v4 quad_perm:[1,0,3,2] row_mask:0xf bank_mask:0xf
	v_add_u32_e32 v4, v5, v4
	s_nop 1
	v_mov_b32_dpp v5, v4 quad_perm:[2,3,0,1] row_mask:0xf bank_mask:0xf
	v_add_u32_e32 v4, v4, v5
	s_nop 1
	v_mov_b32_dpp v5, v4 row_ror:4 row_mask:0xf bank_mask:0xf
	v_add_u32_e32 v4, v4, v5
	s_nop 1
	v_mov_b32_dpp v5, v4 row_ror:8 row_mask:0xf bank_mask:0xf
	v_add_u32_e32 v4, v4, v5
	s_nop 1
	v_mov_b32_dpp v5, v4 row_bcast:15 row_mask:0xf bank_mask:0xf
	v_add_u32_e32 v4, v4, v5
	s_nop 1
	v_mov_b32_dpp v5, v4 row_bcast:31 row_mask:0xf bank_mask:0xf
	v_add_u32_e32 v4, v4, v5
	ds_bpermute_b32 v1, v1, v4
	s_and_saveexec_b64 s[0:1], vcc
	s_cbranch_execz .LBB90_2
; %bb.1:
	s_lshl_b64 s[0:1], s[6:7], 2
	s_add_u32 s0, s2, s0
	s_addc_u32 s1, s3, s1
	s_waitcnt lgkmcnt(0)
	global_store_dword v3, v1, s[0:1]
.LBB90_2:
	s_endpgm
	.section	.rodata,"a",@progbits
	.p2align	6, 0x0
	.amdhsa_kernel _Z19reduce_array_kernelILj256ELj3ELN6hipcub20BlockReduceAlgorithmE1EiEvPT2_S3_
		.amdhsa_group_segment_fixed_size 1024
		.amdhsa_private_segment_fixed_size 0
		.amdhsa_kernarg_size 16
		.amdhsa_user_sgpr_count 6
		.amdhsa_user_sgpr_private_segment_buffer 1
		.amdhsa_user_sgpr_dispatch_ptr 0
		.amdhsa_user_sgpr_queue_ptr 0
		.amdhsa_user_sgpr_kernarg_segment_ptr 1
		.amdhsa_user_sgpr_dispatch_id 0
		.amdhsa_user_sgpr_flat_scratch_init 0
		.amdhsa_user_sgpr_kernarg_preload_length 0
		.amdhsa_user_sgpr_kernarg_preload_offset 0
		.amdhsa_user_sgpr_private_segment_size 0
		.amdhsa_uses_dynamic_stack 0
		.amdhsa_system_sgpr_private_segment_wavefront_offset 0
		.amdhsa_system_sgpr_workgroup_id_x 1
		.amdhsa_system_sgpr_workgroup_id_y 0
		.amdhsa_system_sgpr_workgroup_id_z 0
		.amdhsa_system_sgpr_workgroup_info 0
		.amdhsa_system_vgpr_workitem_id 0
		.amdhsa_next_free_vgpr 11
		.amdhsa_next_free_sgpr 8
		.amdhsa_accum_offset 12
		.amdhsa_reserve_vcc 1
		.amdhsa_reserve_flat_scratch 0
		.amdhsa_float_round_mode_32 0
		.amdhsa_float_round_mode_16_64 0
		.amdhsa_float_denorm_mode_32 3
		.amdhsa_float_denorm_mode_16_64 3
		.amdhsa_dx10_clamp 1
		.amdhsa_ieee_mode 1
		.amdhsa_fp16_overflow 0
		.amdhsa_tg_split 0
		.amdhsa_exception_fp_ieee_invalid_op 0
		.amdhsa_exception_fp_denorm_src 0
		.amdhsa_exception_fp_ieee_div_zero 0
		.amdhsa_exception_fp_ieee_overflow 0
		.amdhsa_exception_fp_ieee_underflow 0
		.amdhsa_exception_fp_ieee_inexact 0
		.amdhsa_exception_int_div_zero 0
	.end_amdhsa_kernel
	.section	.text._Z19reduce_array_kernelILj256ELj3ELN6hipcub20BlockReduceAlgorithmE1EiEvPT2_S3_,"axG",@progbits,_Z19reduce_array_kernelILj256ELj3ELN6hipcub20BlockReduceAlgorithmE1EiEvPT2_S3_,comdat
.Lfunc_end90:
	.size	_Z19reduce_array_kernelILj256ELj3ELN6hipcub20BlockReduceAlgorithmE1EiEvPT2_S3_, .Lfunc_end90-_Z19reduce_array_kernelILj256ELj3ELN6hipcub20BlockReduceAlgorithmE1EiEvPT2_S3_
                                        ; -- End function
	.section	.AMDGPU.csdata,"",@progbits
; Kernel info:
; codeLenInByte = 368
; NumSgprs: 12
; NumVgprs: 11
; NumAgprs: 0
; TotalNumVgprs: 11
; ScratchSize: 0
; MemoryBound: 0
; FloatMode: 240
; IeeeMode: 1
; LDSByteSize: 1024 bytes/workgroup (compile time only)
; SGPRBlocks: 1
; VGPRBlocks: 1
; NumSGPRsForWavesPerEU: 12
; NumVGPRsForWavesPerEU: 11
; AccumOffset: 12
; Occupancy: 8
; WaveLimiterHint : 0
; COMPUTE_PGM_RSRC2:SCRATCH_EN: 0
; COMPUTE_PGM_RSRC2:USER_SGPR: 6
; COMPUTE_PGM_RSRC2:TRAP_HANDLER: 0
; COMPUTE_PGM_RSRC2:TGID_X_EN: 1
; COMPUTE_PGM_RSRC2:TGID_Y_EN: 0
; COMPUTE_PGM_RSRC2:TGID_Z_EN: 0
; COMPUTE_PGM_RSRC2:TIDIG_COMP_CNT: 0
; COMPUTE_PGM_RSRC3_GFX90A:ACCUM_OFFSET: 2
; COMPUTE_PGM_RSRC3_GFX90A:TG_SPLIT: 0
	.section	.text._Z19reduce_array_kernelILj32ELj2ELN6hipcub20BlockReduceAlgorithmE1EfEvPT2_S3_,"axG",@progbits,_Z19reduce_array_kernelILj32ELj2ELN6hipcub20BlockReduceAlgorithmE1EfEvPT2_S3_,comdat
	.protected	_Z19reduce_array_kernelILj32ELj2ELN6hipcub20BlockReduceAlgorithmE1EfEvPT2_S3_ ; -- Begin function _Z19reduce_array_kernelILj32ELj2ELN6hipcub20BlockReduceAlgorithmE1EfEvPT2_S3_
	.globl	_Z19reduce_array_kernelILj32ELj2ELN6hipcub20BlockReduceAlgorithmE1EfEvPT2_S3_
	.p2align	8
	.type	_Z19reduce_array_kernelILj32ELj2ELN6hipcub20BlockReduceAlgorithmE1EfEvPT2_S3_,@function
_Z19reduce_array_kernelILj32ELj2ELN6hipcub20BlockReduceAlgorithmE1EfEvPT2_S3_: ; @_Z19reduce_array_kernelILj32ELj2ELN6hipcub20BlockReduceAlgorithmE1EfEvPT2_S3_
; %bb.0:
	s_load_dwordx4 s[0:3], s[4:5], 0x0
	v_lshlrev_b32_e32 v1, 1, v0
	v_lshl_or_b32 v2, s6, 6, v1
	v_mov_b32_e32 v3, 0
	v_lshlrev_b64 v[4:5], 2, v[2:3]
	s_waitcnt lgkmcnt(0)
	v_mov_b32_e32 v1, s1
	v_add_co_u32_e32 v4, vcc, s0, v4
	v_addc_co_u32_e32 v5, vcc, v1, v5, vcc
	global_load_dwordx2 v[4:5], v[4:5], off
	v_mbcnt_lo_u32_b32 v1, -1, 0
	v_lshlrev_b32_e32 v2, 2, v0
	v_mbcnt_hi_u32_b32 v6, -1, v1
	v_and_b32_e32 v1, 31, v6
	v_cmp_ne_u32_e32 vcc, 31, v1
	s_mov_b32 s7, 0
	s_waitcnt vmcnt(0)
	v_add_f32_e32 v4, v4, v5
	ds_write_b32 v2, v4
	s_waitcnt lgkmcnt(0)
	; wave barrier
	s_waitcnt lgkmcnt(0)
	ds_read_b32 v2, v2
	v_addc_co_u32_e32 v4, vcc, 0, v6, vcc
	v_lshlrev_b32_e32 v4, 2, v4
	v_cmp_gt_u32_e32 vcc, 30, v1
	s_waitcnt lgkmcnt(0)
	ds_bpermute_b32 v4, v4, v2
	v_cndmask_b32_e64 v5, 0, 1, vcc
	v_lshlrev_b32_e32 v5, 1, v5
	v_add_lshl_u32 v5, v5, v6, 2
	v_cmp_gt_u32_e32 vcc, 28, v1
	s_waitcnt lgkmcnt(0)
	v_add_f32_e32 v2, v2, v4
	ds_bpermute_b32 v4, v5, v2
	v_cndmask_b32_e64 v5, 0, 1, vcc
	v_lshlrev_b32_e32 v5, 2, v5
	v_add_lshl_u32 v5, v5, v6, 2
	v_cmp_gt_u32_e32 vcc, 24, v1
	s_waitcnt lgkmcnt(0)
	v_add_f32_e32 v2, v2, v4
	;; [unrolled: 7-line block ×3, first 2 shown]
	ds_bpermute_b32 v4, v5, v2
	v_cndmask_b32_e64 v1, 0, 1, vcc
	v_lshlrev_b32_e32 v5, 4, v1
	v_cmp_eq_u32_e32 vcc, 0, v0
	s_waitcnt lgkmcnt(0)
	v_add_f32_e32 v1, v2, v4
	v_add_lshl_u32 v2, v5, v6, 2
	ds_bpermute_b32 v2, v2, v1
	s_and_saveexec_b64 s[0:1], vcc
	s_cbranch_execz .LBB91_2
; %bb.1:
	s_lshl_b64 s[0:1], s[6:7], 2
	s_add_u32 s0, s2, s0
	s_addc_u32 s1, s3, s1
	s_waitcnt lgkmcnt(0)
	v_add_f32_e32 v0, v1, v2
	global_store_dword v3, v0, s[0:1]
.LBB91_2:
	s_endpgm
	.section	.rodata,"a",@progbits
	.p2align	6, 0x0
	.amdhsa_kernel _Z19reduce_array_kernelILj32ELj2ELN6hipcub20BlockReduceAlgorithmE1EfEvPT2_S3_
		.amdhsa_group_segment_fixed_size 128
		.amdhsa_private_segment_fixed_size 0
		.amdhsa_kernarg_size 16
		.amdhsa_user_sgpr_count 6
		.amdhsa_user_sgpr_private_segment_buffer 1
		.amdhsa_user_sgpr_dispatch_ptr 0
		.amdhsa_user_sgpr_queue_ptr 0
		.amdhsa_user_sgpr_kernarg_segment_ptr 1
		.amdhsa_user_sgpr_dispatch_id 0
		.amdhsa_user_sgpr_flat_scratch_init 0
		.amdhsa_user_sgpr_kernarg_preload_length 0
		.amdhsa_user_sgpr_kernarg_preload_offset 0
		.amdhsa_user_sgpr_private_segment_size 0
		.amdhsa_uses_dynamic_stack 0
		.amdhsa_system_sgpr_private_segment_wavefront_offset 0
		.amdhsa_system_sgpr_workgroup_id_x 1
		.amdhsa_system_sgpr_workgroup_id_y 0
		.amdhsa_system_sgpr_workgroup_id_z 0
		.amdhsa_system_sgpr_workgroup_info 0
		.amdhsa_system_vgpr_workitem_id 0
		.amdhsa_next_free_vgpr 7
		.amdhsa_next_free_sgpr 8
		.amdhsa_accum_offset 8
		.amdhsa_reserve_vcc 1
		.amdhsa_reserve_flat_scratch 0
		.amdhsa_float_round_mode_32 0
		.amdhsa_float_round_mode_16_64 0
		.amdhsa_float_denorm_mode_32 3
		.amdhsa_float_denorm_mode_16_64 3
		.amdhsa_dx10_clamp 1
		.amdhsa_ieee_mode 1
		.amdhsa_fp16_overflow 0
		.amdhsa_tg_split 0
		.amdhsa_exception_fp_ieee_invalid_op 0
		.amdhsa_exception_fp_denorm_src 0
		.amdhsa_exception_fp_ieee_div_zero 0
		.amdhsa_exception_fp_ieee_overflow 0
		.amdhsa_exception_fp_ieee_underflow 0
		.amdhsa_exception_fp_ieee_inexact 0
		.amdhsa_exception_int_div_zero 0
	.end_amdhsa_kernel
	.section	.text._Z19reduce_array_kernelILj32ELj2ELN6hipcub20BlockReduceAlgorithmE1EfEvPT2_S3_,"axG",@progbits,_Z19reduce_array_kernelILj32ELj2ELN6hipcub20BlockReduceAlgorithmE1EfEvPT2_S3_,comdat
.Lfunc_end91:
	.size	_Z19reduce_array_kernelILj32ELj2ELN6hipcub20BlockReduceAlgorithmE1EfEvPT2_S3_, .Lfunc_end91-_Z19reduce_array_kernelILj32ELj2ELN6hipcub20BlockReduceAlgorithmE1EfEvPT2_S3_
                                        ; -- End function
	.section	.AMDGPU.csdata,"",@progbits
; Kernel info:
; codeLenInByte = 344
; NumSgprs: 12
; NumVgprs: 7
; NumAgprs: 0
; TotalNumVgprs: 7
; ScratchSize: 0
; MemoryBound: 0
; FloatMode: 240
; IeeeMode: 1
; LDSByteSize: 128 bytes/workgroup (compile time only)
; SGPRBlocks: 1
; VGPRBlocks: 0
; NumSGPRsForWavesPerEU: 12
; NumVGPRsForWavesPerEU: 7
; AccumOffset: 8
; Occupancy: 8
; WaveLimiterHint : 0
; COMPUTE_PGM_RSRC2:SCRATCH_EN: 0
; COMPUTE_PGM_RSRC2:USER_SGPR: 6
; COMPUTE_PGM_RSRC2:TRAP_HANDLER: 0
; COMPUTE_PGM_RSRC2:TGID_X_EN: 1
; COMPUTE_PGM_RSRC2:TGID_Y_EN: 0
; COMPUTE_PGM_RSRC2:TGID_Z_EN: 0
; COMPUTE_PGM_RSRC2:TIDIG_COMP_CNT: 0
; COMPUTE_PGM_RSRC3_GFX90A:ACCUM_OFFSET: 1
; COMPUTE_PGM_RSRC3_GFX90A:TG_SPLIT: 0
	.section	.text._Z19reduce_array_kernelILj6ELj32ELN6hipcub20BlockReduceAlgorithmE1EfEvPT2_S3_,"axG",@progbits,_Z19reduce_array_kernelILj6ELj32ELN6hipcub20BlockReduceAlgorithmE1EfEvPT2_S3_,comdat
	.protected	_Z19reduce_array_kernelILj6ELj32ELN6hipcub20BlockReduceAlgorithmE1EfEvPT2_S3_ ; -- Begin function _Z19reduce_array_kernelILj6ELj32ELN6hipcub20BlockReduceAlgorithmE1EfEvPT2_S3_
	.globl	_Z19reduce_array_kernelILj6ELj32ELN6hipcub20BlockReduceAlgorithmE1EfEvPT2_S3_
	.p2align	8
	.type	_Z19reduce_array_kernelILj6ELj32ELN6hipcub20BlockReduceAlgorithmE1EfEvPT2_S3_,@function
_Z19reduce_array_kernelILj6ELj32ELN6hipcub20BlockReduceAlgorithmE1EfEvPT2_S3_: ; @_Z19reduce_array_kernelILj6ELj32ELN6hipcub20BlockReduceAlgorithmE1EfEvPT2_S3_
; %bb.0:
	s_load_dwordx4 s[0:3], s[4:5], 0x0
	s_mul_i32 s4, s6, 6
	v_add_lshl_u32 v2, s4, v0, 5
	v_mov_b32_e32 v3, 0
	v_lshlrev_b64 v[4:5], 2, v[2:3]
	s_waitcnt lgkmcnt(0)
	v_mov_b32_e32 v1, s1
	v_add_co_u32_e32 v36, vcc, s0, v4
	v_addc_co_u32_e32 v37, vcc, v1, v5, vcc
	global_load_dwordx4 v[4:7], v[36:37], off
	global_load_dwordx4 v[8:11], v[36:37], off offset:16
	global_load_dwordx4 v[12:15], v[36:37], off offset:32
	;; [unrolled: 1-line block ×7, first 2 shown]
	v_mbcnt_lo_u32_b32 v1, -1, 0
	v_lshlrev_b32_e32 v2, 2, v0
	v_mbcnt_hi_u32_b32 v36, -1, v1
	v_and_b32_e32 v1, 7, v36
	v_cmp_ne_u32_e32 vcc, 7, v1
	v_cmp_gt_u32_e64 s[0:1], 4, v1
	s_mov_b32 s7, 0
	s_waitcnt vmcnt(7)
	v_add_f32_e32 v4, v4, v5
	v_add_f32_e32 v4, v4, v6
	v_add_f32_e32 v4, v4, v7
	s_waitcnt vmcnt(6)
	v_add_f32_e32 v4, v4, v8
	v_add_f32_e32 v4, v4, v9
	v_add_f32_e32 v4, v4, v10
	v_add_f32_e32 v4, v4, v11
	s_waitcnt vmcnt(5)
	v_add_f32_e32 v4, v4, v12
	;; [unrolled: 5-line block ×7, first 2 shown]
	v_add_f32_e32 v4, v4, v33
	v_add_f32_e32 v4, v4, v34
	;; [unrolled: 1-line block ×3, first 2 shown]
	ds_write_b32 v2, v4
	s_waitcnt lgkmcnt(0)
	; wave barrier
	s_waitcnt lgkmcnt(0)
	ds_read_b32 v2, v2
	v_addc_co_u32_e32 v4, vcc, 0, v36, vcc
	v_lshlrev_b32_e32 v4, 2, v4
	v_cmp_gt_u32_e32 vcc, 6, v1
	s_waitcnt lgkmcnt(0)
	ds_bpermute_b32 v4, v4, v2
	v_cndmask_b32_e64 v5, 0, 1, vcc
	v_lshlrev_b32_e32 v5, 1, v5
	v_cmp_gt_u32_e32 vcc, 5, v1
	v_add_lshl_u32 v5, v5, v36, 2
	s_waitcnt lgkmcnt(0)
	v_add_f32_e32 v4, v2, v4
	v_cndmask_b32_e32 v4, v2, v4, vcc
	ds_bpermute_b32 v5, v5, v4
	s_waitcnt lgkmcnt(0)
	v_add_f32_e32 v5, v4, v5
	v_cndmask_b32_e64 v4, v4, v5, s[0:1]
	v_cndmask_b32_e64 v5, 0, 1, s[0:1]
	v_lshlrev_b32_e32 v5, 2, v5
	v_add_lshl_u32 v5, v5, v36, 2
	ds_bpermute_b32 v5, v5, v4
	v_cmp_eq_u32_e64 s[0:1], 0, v0
	s_and_saveexec_b64 s[4:5], s[0:1]
	s_cbranch_execz .LBB92_2
; %bb.1:
	s_lshl_b64 s[0:1], s[6:7], 2
	s_add_u32 s2, s2, s0
	s_addc_u32 s3, s3, s1
	s_waitcnt lgkmcnt(0)
	v_add_f32_e32 v0, v4, v5
	v_cmp_gt_u32_e64 s[0:1], 2, v1
	v_cndmask_b32_e64 v0, v4, v0, s[0:1]
	v_cndmask_b32_e32 v0, v2, v0, vcc
	global_store_dword v3, v0, s[2:3]
.LBB92_2:
	s_endpgm
	.section	.rodata,"a",@progbits
	.p2align	6, 0x0
	.amdhsa_kernel _Z19reduce_array_kernelILj6ELj32ELN6hipcub20BlockReduceAlgorithmE1EfEvPT2_S3_
		.amdhsa_group_segment_fixed_size 24
		.amdhsa_private_segment_fixed_size 0
		.amdhsa_kernarg_size 16
		.amdhsa_user_sgpr_count 6
		.amdhsa_user_sgpr_private_segment_buffer 1
		.amdhsa_user_sgpr_dispatch_ptr 0
		.amdhsa_user_sgpr_queue_ptr 0
		.amdhsa_user_sgpr_kernarg_segment_ptr 1
		.amdhsa_user_sgpr_dispatch_id 0
		.amdhsa_user_sgpr_flat_scratch_init 0
		.amdhsa_user_sgpr_kernarg_preload_length 0
		.amdhsa_user_sgpr_kernarg_preload_offset 0
		.amdhsa_user_sgpr_private_segment_size 0
		.amdhsa_uses_dynamic_stack 0
		.amdhsa_system_sgpr_private_segment_wavefront_offset 0
		.amdhsa_system_sgpr_workgroup_id_x 1
		.amdhsa_system_sgpr_workgroup_id_y 0
		.amdhsa_system_sgpr_workgroup_id_z 0
		.amdhsa_system_sgpr_workgroup_info 0
		.amdhsa_system_vgpr_workitem_id 0
		.amdhsa_next_free_vgpr 38
		.amdhsa_next_free_sgpr 8
		.amdhsa_accum_offset 40
		.amdhsa_reserve_vcc 1
		.amdhsa_reserve_flat_scratch 0
		.amdhsa_float_round_mode_32 0
		.amdhsa_float_round_mode_16_64 0
		.amdhsa_float_denorm_mode_32 3
		.amdhsa_float_denorm_mode_16_64 3
		.amdhsa_dx10_clamp 1
		.amdhsa_ieee_mode 1
		.amdhsa_fp16_overflow 0
		.amdhsa_tg_split 0
		.amdhsa_exception_fp_ieee_invalid_op 0
		.amdhsa_exception_fp_denorm_src 0
		.amdhsa_exception_fp_ieee_div_zero 0
		.amdhsa_exception_fp_ieee_overflow 0
		.amdhsa_exception_fp_ieee_underflow 0
		.amdhsa_exception_fp_ieee_inexact 0
		.amdhsa_exception_int_div_zero 0
	.end_amdhsa_kernel
	.section	.text._Z19reduce_array_kernelILj6ELj32ELN6hipcub20BlockReduceAlgorithmE1EfEvPT2_S3_,"axG",@progbits,_Z19reduce_array_kernelILj6ELj32ELN6hipcub20BlockReduceAlgorithmE1EfEvPT2_S3_,comdat
.Lfunc_end92:
	.size	_Z19reduce_array_kernelILj6ELj32ELN6hipcub20BlockReduceAlgorithmE1EfEvPT2_S3_, .Lfunc_end92-_Z19reduce_array_kernelILj6ELj32ELN6hipcub20BlockReduceAlgorithmE1EfEvPT2_S3_
                                        ; -- End function
	.section	.AMDGPU.csdata,"",@progbits
; Kernel info:
; codeLenInByte = 512
; NumSgprs: 12
; NumVgprs: 38
; NumAgprs: 0
; TotalNumVgprs: 38
; ScratchSize: 0
; MemoryBound: 0
; FloatMode: 240
; IeeeMode: 1
; LDSByteSize: 24 bytes/workgroup (compile time only)
; SGPRBlocks: 1
; VGPRBlocks: 4
; NumSGPRsForWavesPerEU: 12
; NumVGPRsForWavesPerEU: 38
; AccumOffset: 40
; Occupancy: 8
; WaveLimiterHint : 0
; COMPUTE_PGM_RSRC2:SCRATCH_EN: 0
; COMPUTE_PGM_RSRC2:USER_SGPR: 6
; COMPUTE_PGM_RSRC2:TRAP_HANDLER: 0
; COMPUTE_PGM_RSRC2:TGID_X_EN: 1
; COMPUTE_PGM_RSRC2:TGID_Y_EN: 0
; COMPUTE_PGM_RSRC2:TGID_Z_EN: 0
; COMPUTE_PGM_RSRC2:TIDIG_COMP_CNT: 0
; COMPUTE_PGM_RSRC3_GFX90A:ACCUM_OFFSET: 9
; COMPUTE_PGM_RSRC3_GFX90A:TG_SPLIT: 0
	.section	.text._Z19reduce_array_kernelILj32ELj4ELN6hipcub20BlockReduceAlgorithmE0E12hip_bfloat16EvPT2_S4_,"axG",@progbits,_Z19reduce_array_kernelILj32ELj4ELN6hipcub20BlockReduceAlgorithmE0E12hip_bfloat16EvPT2_S4_,comdat
	.protected	_Z19reduce_array_kernelILj32ELj4ELN6hipcub20BlockReduceAlgorithmE0E12hip_bfloat16EvPT2_S4_ ; -- Begin function _Z19reduce_array_kernelILj32ELj4ELN6hipcub20BlockReduceAlgorithmE0E12hip_bfloat16EvPT2_S4_
	.globl	_Z19reduce_array_kernelILj32ELj4ELN6hipcub20BlockReduceAlgorithmE0E12hip_bfloat16EvPT2_S4_
	.p2align	8
	.type	_Z19reduce_array_kernelILj32ELj4ELN6hipcub20BlockReduceAlgorithmE0E12hip_bfloat16EvPT2_S4_,@function
_Z19reduce_array_kernelILj32ELj4ELN6hipcub20BlockReduceAlgorithmE0E12hip_bfloat16EvPT2_S4_: ; @_Z19reduce_array_kernelILj32ELj4ELN6hipcub20BlockReduceAlgorithmE0E12hip_bfloat16EvPT2_S4_
; %bb.0:
	s_load_dwordx4 s[0:3], s[4:5], 0x0
	v_lshlrev_b32_e32 v1, 2, v0
	v_lshl_or_b32 v2, s6, 7, v1
	v_mov_b32_e32 v3, 0
	v_lshlrev_b64 v[2:3], 1, v[2:3]
	s_waitcnt lgkmcnt(0)
	v_mov_b32_e32 v1, s1
	v_add_co_u32_e32 v2, vcc, s0, v2
	v_addc_co_u32_e32 v3, vcc, v1, v3, vcc
	global_load_dwordx2 v[2:3], v[2:3], off
	s_mov_b32 s0, 0x7f800000
	s_waitcnt vmcnt(0)
	v_and_b32_e32 v4, 0xffff0000, v2
	v_lshlrev_b32_e32 v2, 16, v2
	v_pk_add_f32 v[4:5], v[4:5], v[2:3] op_sel_hi:[0,1]
	v_and_b32_e32 v1, 0x7f800000, v4
	v_cmp_ne_u32_e32 vcc, s0, v1
                                        ; implicit-def: $vgpr1
	s_and_saveexec_b64 s[0:1], vcc
	s_xor_b64 s[0:1], exec, s[0:1]
; %bb.1:
	v_bfe_u32 v1, v4, 16, 1
	s_movk_i32 s4, 0x7fff
	v_add3_u32 v1, v4, v1, s4
                                        ; implicit-def: $vgpr4_vgpr5
; %bb.2:
	s_andn2_saveexec_b64 s[0:1], s[0:1]
; %bb.3:
	v_mov_b32_e32 v1, 0
	v_or_b32_e32 v2, 0x10000, v4
	v_cmp_eq_u32_sdwa vcc, v4, v1 src0_sel:WORD_0 src1_sel:DWORD
	v_cndmask_b32_e32 v1, v2, v4, vcc
; %bb.4:
	s_or_b64 exec, exec, s[0:1]
	v_and_b32_e32 v1, 0xffff0000, v1
	v_lshlrev_b32_e32 v2, 16, v3
	v_add_f32_e32 v1, v1, v2
	s_mov_b32 s0, 0x7f800000
	v_and_b32_e32 v2, 0x7f800000, v1
	v_cmp_ne_u32_e32 vcc, s0, v2
                                        ; implicit-def: $vgpr2
	s_and_saveexec_b64 s[0:1], vcc
	s_xor_b64 s[0:1], exec, s[0:1]
; %bb.5:
	v_bfe_u32 v2, v1, 16, 1
	s_movk_i32 s4, 0x7fff
	v_add3_u32 v2, v1, v2, s4
                                        ; implicit-def: $vgpr1
; %bb.6:
	s_andn2_saveexec_b64 s[0:1], s[0:1]
; %bb.7:
	v_mov_b32_e32 v2, 0
	v_or_b32_e32 v4, 0x10000, v1
	v_cmp_eq_u32_sdwa vcc, v1, v2 src0_sel:WORD_0 src1_sel:DWORD
	v_cndmask_b32_e32 v2, v4, v1, vcc
; %bb.8:
	s_or_b64 exec, exec, s[0:1]
	v_and_b32_e32 v1, 0xffff0000, v2
	v_and_b32_e32 v2, 0xffff0000, v3
	v_add_f32_e32 v1, v1, v2
	s_mov_b32 s0, 0x7f800000
	v_and_b32_e32 v2, 0x7f800000, v1
	v_cmp_ne_u32_e32 vcc, s0, v2
                                        ; implicit-def: $vgpr3
	s_and_saveexec_b64 s[0:1], vcc
	s_xor_b64 s[0:1], exec, s[0:1]
; %bb.9:
	v_bfe_u32 v2, v1, 16, 1
	s_movk_i32 s4, 0x7fff
	v_add3_u32 v3, v1, v2, s4
                                        ; implicit-def: $vgpr1
; %bb.10:
	s_andn2_saveexec_b64 s[0:1], s[0:1]
; %bb.11:
	v_mov_b32_e32 v2, 0
	v_or_b32_e32 v3, 0x10000, v1
	v_cmp_eq_u32_sdwa vcc, v1, v2 src0_sel:WORD_0 src1_sel:DWORD
	v_cndmask_b32_e32 v3, v3, v1, vcc
; %bb.12:
	s_or_b64 exec, exec, s[0:1]
	v_mbcnt_lo_u32_b32 v1, -1, 0
	v_mbcnt_hi_u32_b32 v1, -1, v1
	v_and_b32_e32 v2, 31, v1
	v_cmp_ne_u32_e32 vcc, 31, v2
	v_addc_co_u32_e32 v5, vcc, 0, v1, vcc
	v_lshrrev_b32_e32 v4, 16, v3
	v_lshlrev_b32_e32 v5, 2, v5
	ds_bpermute_b32 v4, v5, v4
	v_and_b32_e32 v3, 0xffff0000, v3
	s_mov_b32 s0, 0x7f800000
	s_waitcnt lgkmcnt(0)
	v_lshlrev_b32_e32 v4, 16, v4
	v_add_f32_e32 v4, v3, v4
	v_and_b32_e32 v3, 0x7f800000, v4
	v_cmp_ne_u32_e32 vcc, s0, v3
                                        ; implicit-def: $vgpr3
	s_and_saveexec_b64 s[0:1], vcc
	s_xor_b64 s[0:1], exec, s[0:1]
; %bb.13:
	v_bfe_u32 v3, v4, 16, 1
	s_movk_i32 s4, 0x7fff
	v_add3_u32 v3, v4, v3, s4
                                        ; implicit-def: $vgpr4
; %bb.14:
	s_andn2_saveexec_b64 s[0:1], s[0:1]
; %bb.15:
	v_mov_b32_e32 v3, 0
	v_or_b32_e32 v5, 0x10000, v4
	v_cmp_eq_u32_sdwa vcc, v4, v3 src0_sel:WORD_0 src1_sel:DWORD
	v_cndmask_b32_e32 v3, v5, v4, vcc
; %bb.16:
	s_or_b64 exec, exec, s[0:1]
	v_cmp_gt_u32_e32 vcc, 30, v2
	v_cndmask_b32_e64 v5, 0, 1, vcc
	v_lshlrev_b32_e32 v5, 1, v5
	v_lshrrev_b32_e32 v4, 16, v3
	v_add_lshl_u32 v5, v5, v1, 2
	ds_bpermute_b32 v4, v5, v4
	v_and_b32_e32 v3, 0xffff0000, v3
	s_mov_b32 s0, 0x7f800000
	s_waitcnt lgkmcnt(0)
	v_lshlrev_b32_e32 v4, 16, v4
	v_add_f32_e32 v4, v3, v4
	v_and_b32_e32 v3, 0x7f800000, v4
	v_cmp_ne_u32_e32 vcc, s0, v3
                                        ; implicit-def: $vgpr3
	s_and_saveexec_b64 s[0:1], vcc
	s_xor_b64 s[0:1], exec, s[0:1]
; %bb.17:
	v_bfe_u32 v3, v4, 16, 1
	s_movk_i32 s4, 0x7fff
	v_add3_u32 v3, v4, v3, s4
                                        ; implicit-def: $vgpr4
; %bb.18:
	s_andn2_saveexec_b64 s[0:1], s[0:1]
; %bb.19:
	v_mov_b32_e32 v3, 0
	v_or_b32_e32 v5, 0x10000, v4
	v_cmp_eq_u32_sdwa vcc, v4, v3 src0_sel:WORD_0 src1_sel:DWORD
	v_cndmask_b32_e32 v3, v5, v4, vcc
; %bb.20:
	s_or_b64 exec, exec, s[0:1]
	v_cmp_gt_u32_e32 vcc, 28, v2
	v_cndmask_b32_e64 v5, 0, 1, vcc
	v_lshlrev_b32_e32 v5, 2, v5
	v_lshrrev_b32_e32 v4, 16, v3
	v_add_lshl_u32 v5, v5, v1, 2
	;; [unrolled: 30-line block ×4, first 2 shown]
	ds_bpermute_b32 v1, v1, v4
	v_and_b32_e32 v2, 0xffff0000, v3
	s_mov_b32 s0, 0x7f800000
	s_waitcnt lgkmcnt(0)
	v_lshlrev_b32_e32 v1, 16, v1
	v_add_f32_e32 v2, v2, v1
	v_and_b32_e32 v1, 0x7f800000, v2
	v_cmp_ne_u32_e32 vcc, s0, v1
                                        ; implicit-def: $vgpr1
	s_and_saveexec_b64 s[0:1], vcc
	s_xor_b64 s[0:1], exec, s[0:1]
; %bb.29:
	v_bfe_u32 v1, v2, 16, 1
	s_movk_i32 s4, 0x7fff
	v_add3_u32 v1, v2, v1, s4
                                        ; implicit-def: $vgpr2
; %bb.30:
	s_andn2_saveexec_b64 s[0:1], s[0:1]
; %bb.31:
	v_mov_b32_e32 v1, 0
	v_or_b32_e32 v3, 0x10000, v2
	v_cmp_eq_u32_sdwa vcc, v2, v1 src0_sel:WORD_0 src1_sel:DWORD
	v_cndmask_b32_e32 v1, v3, v2, vcc
; %bb.32:
	s_or_b64 exec, exec, s[0:1]
	s_mov_b32 s7, 0
	v_cmp_eq_u32_e32 vcc, 0, v0
	s_and_saveexec_b64 s[0:1], vcc
	s_cbranch_execz .LBB93_34
; %bb.33:
	s_lshl_b64 s[0:1], s[6:7], 1
	s_add_u32 s0, s2, s0
	s_addc_u32 s1, s3, s1
	v_mov_b32_e32 v0, 0
	global_store_short_d16_hi v0, v1, s[0:1]
.LBB93_34:
	s_endpgm
	.section	.rodata,"a",@progbits
	.p2align	6, 0x0
	.amdhsa_kernel _Z19reduce_array_kernelILj32ELj4ELN6hipcub20BlockReduceAlgorithmE0E12hip_bfloat16EvPT2_S4_
		.amdhsa_group_segment_fixed_size 0
		.amdhsa_private_segment_fixed_size 0
		.amdhsa_kernarg_size 16
		.amdhsa_user_sgpr_count 6
		.amdhsa_user_sgpr_private_segment_buffer 1
		.amdhsa_user_sgpr_dispatch_ptr 0
		.amdhsa_user_sgpr_queue_ptr 0
		.amdhsa_user_sgpr_kernarg_segment_ptr 1
		.amdhsa_user_sgpr_dispatch_id 0
		.amdhsa_user_sgpr_flat_scratch_init 0
		.amdhsa_user_sgpr_kernarg_preload_length 0
		.amdhsa_user_sgpr_kernarg_preload_offset 0
		.amdhsa_user_sgpr_private_segment_size 0
		.amdhsa_uses_dynamic_stack 0
		.amdhsa_system_sgpr_private_segment_wavefront_offset 0
		.amdhsa_system_sgpr_workgroup_id_x 1
		.amdhsa_system_sgpr_workgroup_id_y 0
		.amdhsa_system_sgpr_workgroup_id_z 0
		.amdhsa_system_sgpr_workgroup_info 0
		.amdhsa_system_vgpr_workitem_id 0
		.amdhsa_next_free_vgpr 6
		.amdhsa_next_free_sgpr 8
		.amdhsa_accum_offset 8
		.amdhsa_reserve_vcc 1
		.amdhsa_reserve_flat_scratch 0
		.amdhsa_float_round_mode_32 0
		.amdhsa_float_round_mode_16_64 0
		.amdhsa_float_denorm_mode_32 3
		.amdhsa_float_denorm_mode_16_64 3
		.amdhsa_dx10_clamp 1
		.amdhsa_ieee_mode 1
		.amdhsa_fp16_overflow 0
		.amdhsa_tg_split 0
		.amdhsa_exception_fp_ieee_invalid_op 0
		.amdhsa_exception_fp_denorm_src 0
		.amdhsa_exception_fp_ieee_div_zero 0
		.amdhsa_exception_fp_ieee_overflow 0
		.amdhsa_exception_fp_ieee_underflow 0
		.amdhsa_exception_fp_ieee_inexact 0
		.amdhsa_exception_int_div_zero 0
	.end_amdhsa_kernel
	.section	.text._Z19reduce_array_kernelILj32ELj4ELN6hipcub20BlockReduceAlgorithmE0E12hip_bfloat16EvPT2_S4_,"axG",@progbits,_Z19reduce_array_kernelILj32ELj4ELN6hipcub20BlockReduceAlgorithmE0E12hip_bfloat16EvPT2_S4_,comdat
.Lfunc_end93:
	.size	_Z19reduce_array_kernelILj32ELj4ELN6hipcub20BlockReduceAlgorithmE0E12hip_bfloat16EvPT2_S4_, .Lfunc_end93-_Z19reduce_array_kernelILj32ELj4ELN6hipcub20BlockReduceAlgorithmE0E12hip_bfloat16EvPT2_S4_
                                        ; -- End function
	.section	.AMDGPU.csdata,"",@progbits
; Kernel info:
; codeLenInByte = 1088
; NumSgprs: 12
; NumVgprs: 6
; NumAgprs: 0
; TotalNumVgprs: 6
; ScratchSize: 0
; MemoryBound: 0
; FloatMode: 240
; IeeeMode: 1
; LDSByteSize: 0 bytes/workgroup (compile time only)
; SGPRBlocks: 1
; VGPRBlocks: 0
; NumSGPRsForWavesPerEU: 12
; NumVGPRsForWavesPerEU: 6
; AccumOffset: 8
; Occupancy: 8
; WaveLimiterHint : 0
; COMPUTE_PGM_RSRC2:SCRATCH_EN: 0
; COMPUTE_PGM_RSRC2:USER_SGPR: 6
; COMPUTE_PGM_RSRC2:TRAP_HANDLER: 0
; COMPUTE_PGM_RSRC2:TGID_X_EN: 1
; COMPUTE_PGM_RSRC2:TGID_Y_EN: 0
; COMPUTE_PGM_RSRC2:TGID_Z_EN: 0
; COMPUTE_PGM_RSRC2:TIDIG_COMP_CNT: 0
; COMPUTE_PGM_RSRC3_GFX90A:ACCUM_OFFSET: 1
; COMPUTE_PGM_RSRC3_GFX90A:TG_SPLIT: 0
	.section	.text._Z19reduce_array_kernelILj32ELj4ELN6hipcub20BlockReduceAlgorithmE0E6__halfEvPT2_S4_,"axG",@progbits,_Z19reduce_array_kernelILj32ELj4ELN6hipcub20BlockReduceAlgorithmE0E6__halfEvPT2_S4_,comdat
	.protected	_Z19reduce_array_kernelILj32ELj4ELN6hipcub20BlockReduceAlgorithmE0E6__halfEvPT2_S4_ ; -- Begin function _Z19reduce_array_kernelILj32ELj4ELN6hipcub20BlockReduceAlgorithmE0E6__halfEvPT2_S4_
	.globl	_Z19reduce_array_kernelILj32ELj4ELN6hipcub20BlockReduceAlgorithmE0E6__halfEvPT2_S4_
	.p2align	8
	.type	_Z19reduce_array_kernelILj32ELj4ELN6hipcub20BlockReduceAlgorithmE0E6__halfEvPT2_S4_,@function
_Z19reduce_array_kernelILj32ELj4ELN6hipcub20BlockReduceAlgorithmE0E6__halfEvPT2_S4_: ; @_Z19reduce_array_kernelILj32ELj4ELN6hipcub20BlockReduceAlgorithmE0E6__halfEvPT2_S4_
; %bb.0:
	s_load_dwordx4 s[0:3], s[4:5], 0x0
	v_lshlrev_b32_e32 v1, 2, v0
	v_lshl_or_b32 v2, s6, 7, v1
	v_mov_b32_e32 v3, 0
	v_lshlrev_b64 v[4:5], 1, v[2:3]
	s_waitcnt lgkmcnt(0)
	v_mov_b32_e32 v1, s1
	v_add_co_u32_e32 v4, vcc, s0, v4
	v_addc_co_u32_e32 v5, vcc, v1, v5, vcc
	global_load_dwordx2 v[4:5], v[4:5], off
	v_mbcnt_lo_u32_b32 v1, -1, 0
	v_mbcnt_hi_u32_b32 v2, -1, v1
	v_and_b32_e32 v1, 31, v2
	v_cmp_ne_u32_e32 vcc, 31, v1
	v_addc_co_u32_e32 v6, vcc, 0, v2, vcc
	v_lshlrev_b32_e32 v6, 2, v6
	v_cmp_gt_u32_e32 vcc, 30, v1
	s_mov_b32 s7, 0
	s_waitcnt vmcnt(0)
	v_add_f16_sdwa v4, v4, v4 dst_sel:DWORD dst_unused:UNUSED_PAD src0_sel:DWORD src1_sel:WORD_1
	v_add_f16_e32 v4, v4, v5
	v_add_f16_sdwa v4, v4, v5 dst_sel:DWORD dst_unused:UNUSED_PAD src0_sel:DWORD src1_sel:WORD_1
	ds_bpermute_b32 v5, v6, v4
	v_cndmask_b32_e64 v6, 0, 1, vcc
	v_lshlrev_b32_e32 v6, 1, v6
	v_add_lshl_u32 v6, v6, v2, 2
	v_cmp_gt_u32_e32 vcc, 28, v1
	s_waitcnt lgkmcnt(0)
	v_add_f16_e32 v4, v4, v5
	ds_bpermute_b32 v5, v6, v4
	v_cndmask_b32_e64 v6, 0, 1, vcc
	v_lshlrev_b32_e32 v6, 2, v6
	v_add_lshl_u32 v6, v6, v2, 2
	v_cmp_gt_u32_e32 vcc, 24, v1
	s_waitcnt lgkmcnt(0)
	v_add_f16_e32 v4, v4, v5
	;; [unrolled: 7-line block ×3, first 2 shown]
	ds_bpermute_b32 v5, v6, v4
	v_cndmask_b32_e64 v1, 0, 1, vcc
	v_lshlrev_b32_e32 v6, 4, v1
	v_add_lshl_u32 v2, v6, v2, 2
	v_cmp_eq_u32_e32 vcc, 0, v0
	s_waitcnt lgkmcnt(0)
	v_add_f16_e32 v1, v4, v5
	ds_bpermute_b32 v2, v2, v1
	s_and_saveexec_b64 s[0:1], vcc
	s_cbranch_execz .LBB94_2
; %bb.1:
	s_lshl_b64 s[0:1], s[6:7], 1
	s_add_u32 s0, s2, s0
	s_addc_u32 s1, s3, s1
	s_waitcnt lgkmcnt(0)
	v_add_f16_e32 v0, v1, v2
	global_store_short v3, v0, s[0:1]
.LBB94_2:
	s_endpgm
	.section	.rodata,"a",@progbits
	.p2align	6, 0x0
	.amdhsa_kernel _Z19reduce_array_kernelILj32ELj4ELN6hipcub20BlockReduceAlgorithmE0E6__halfEvPT2_S4_
		.amdhsa_group_segment_fixed_size 0
		.amdhsa_private_segment_fixed_size 0
		.amdhsa_kernarg_size 16
		.amdhsa_user_sgpr_count 6
		.amdhsa_user_sgpr_private_segment_buffer 1
		.amdhsa_user_sgpr_dispatch_ptr 0
		.amdhsa_user_sgpr_queue_ptr 0
		.amdhsa_user_sgpr_kernarg_segment_ptr 1
		.amdhsa_user_sgpr_dispatch_id 0
		.amdhsa_user_sgpr_flat_scratch_init 0
		.amdhsa_user_sgpr_kernarg_preload_length 0
		.amdhsa_user_sgpr_kernarg_preload_offset 0
		.amdhsa_user_sgpr_private_segment_size 0
		.amdhsa_uses_dynamic_stack 0
		.amdhsa_system_sgpr_private_segment_wavefront_offset 0
		.amdhsa_system_sgpr_workgroup_id_x 1
		.amdhsa_system_sgpr_workgroup_id_y 0
		.amdhsa_system_sgpr_workgroup_id_z 0
		.amdhsa_system_sgpr_workgroup_info 0
		.amdhsa_system_vgpr_workitem_id 0
		.amdhsa_next_free_vgpr 7
		.amdhsa_next_free_sgpr 8
		.amdhsa_accum_offset 8
		.amdhsa_reserve_vcc 1
		.amdhsa_reserve_flat_scratch 0
		.amdhsa_float_round_mode_32 0
		.amdhsa_float_round_mode_16_64 0
		.amdhsa_float_denorm_mode_32 3
		.amdhsa_float_denorm_mode_16_64 3
		.amdhsa_dx10_clamp 1
		.amdhsa_ieee_mode 1
		.amdhsa_fp16_overflow 0
		.amdhsa_tg_split 0
		.amdhsa_exception_fp_ieee_invalid_op 0
		.amdhsa_exception_fp_denorm_src 0
		.amdhsa_exception_fp_ieee_div_zero 0
		.amdhsa_exception_fp_ieee_overflow 0
		.amdhsa_exception_fp_ieee_underflow 0
		.amdhsa_exception_fp_ieee_inexact 0
		.amdhsa_exception_int_div_zero 0
	.end_amdhsa_kernel
	.section	.text._Z19reduce_array_kernelILj32ELj4ELN6hipcub20BlockReduceAlgorithmE0E6__halfEvPT2_S4_,"axG",@progbits,_Z19reduce_array_kernelILj32ELj4ELN6hipcub20BlockReduceAlgorithmE0E6__halfEvPT2_S4_,comdat
.Lfunc_end94:
	.size	_Z19reduce_array_kernelILj32ELj4ELN6hipcub20BlockReduceAlgorithmE0E6__halfEvPT2_S4_, .Lfunc_end94-_Z19reduce_array_kernelILj32ELj4ELN6hipcub20BlockReduceAlgorithmE0E6__halfEvPT2_S4_
                                        ; -- End function
	.section	.AMDGPU.csdata,"",@progbits
; Kernel info:
; codeLenInByte = 328
; NumSgprs: 12
; NumVgprs: 7
; NumAgprs: 0
; TotalNumVgprs: 7
; ScratchSize: 0
; MemoryBound: 0
; FloatMode: 240
; IeeeMode: 1
; LDSByteSize: 0 bytes/workgroup (compile time only)
; SGPRBlocks: 1
; VGPRBlocks: 0
; NumSGPRsForWavesPerEU: 12
; NumVGPRsForWavesPerEU: 7
; AccumOffset: 8
; Occupancy: 8
; WaveLimiterHint : 0
; COMPUTE_PGM_RSRC2:SCRATCH_EN: 0
; COMPUTE_PGM_RSRC2:USER_SGPR: 6
; COMPUTE_PGM_RSRC2:TRAP_HANDLER: 0
; COMPUTE_PGM_RSRC2:TGID_X_EN: 1
; COMPUTE_PGM_RSRC2:TGID_Y_EN: 0
; COMPUTE_PGM_RSRC2:TGID_Z_EN: 0
; COMPUTE_PGM_RSRC2:TIDIG_COMP_CNT: 0
; COMPUTE_PGM_RSRC3_GFX90A:ACCUM_OFFSET: 1
; COMPUTE_PGM_RSRC3_GFX90A:TG_SPLIT: 0
	.section	.text._Z19reduce_array_kernelILj255ELj15ELN6hipcub20BlockReduceAlgorithmE0EfEvPT2_S3_,"axG",@progbits,_Z19reduce_array_kernelILj255ELj15ELN6hipcub20BlockReduceAlgorithmE0EfEvPT2_S3_,comdat
	.protected	_Z19reduce_array_kernelILj255ELj15ELN6hipcub20BlockReduceAlgorithmE0EfEvPT2_S3_ ; -- Begin function _Z19reduce_array_kernelILj255ELj15ELN6hipcub20BlockReduceAlgorithmE0EfEvPT2_S3_
	.globl	_Z19reduce_array_kernelILj255ELj15ELN6hipcub20BlockReduceAlgorithmE0EfEvPT2_S3_
	.p2align	8
	.type	_Z19reduce_array_kernelILj255ELj15ELN6hipcub20BlockReduceAlgorithmE0EfEvPT2_S3_,@function
_Z19reduce_array_kernelILj255ELj15ELN6hipcub20BlockReduceAlgorithmE0EfEvPT2_S3_: ; @_Z19reduce_array_kernelILj255ELj15ELN6hipcub20BlockReduceAlgorithmE0EfEvPT2_S3_
; %bb.0:
	s_load_dwordx4 s[0:3], s[4:5], 0x0
	s_mul_i32 s4, s6, 0xff
	v_add_u32_e32 v1, s4, v0
	v_mul_lo_u32 v2, v1, 15
	v_mov_b32_e32 v3, 0
	v_lshlrev_b64 v[4:5], 2, v[2:3]
	s_waitcnt lgkmcnt(0)
	v_mov_b32_e32 v1, s1
	v_add_co_u32_e32 v4, vcc, s0, v4
	v_add_u32_e32 v6, 1, v2
	v_mov_b32_e32 v7, v3
	v_addc_co_u32_e32 v5, vcc, v1, v5, vcc
	v_lshlrev_b64 v[6:7], 2, v[6:7]
	v_add_co_u32_e32 v6, vcc, s0, v6
	v_add_u32_e32 v8, 2, v2
	v_mov_b32_e32 v9, v3
	v_addc_co_u32_e32 v7, vcc, v1, v7, vcc
	v_lshlrev_b64 v[8:9], 2, v[8:9]
	;; [unrolled: 5-line block ×7, first 2 shown]
	v_add_co_u32_e32 v18, vcc, s0, v18
	v_addc_co_u32_e32 v19, vcc, v1, v19, vcc
	global_load_dword v1, v[4:5], off
	global_load_dword v20, v[6:7], off
	global_load_dword v21, v[8:9], off
	global_load_dword v22, v[10:11], off
	global_load_dword v23, v[12:13], off
	global_load_dword v24, v[14:15], off
	global_load_dword v25, v[16:17], off
	global_load_dword v26, v[18:19], off
	v_add_u32_e32 v4, 8, v2
	v_mov_b32_e32 v5, v3
	v_lshlrev_b64 v[4:5], 2, v[4:5]
	v_mov_b32_e32 v6, s1
	v_add_co_u32_e32 v4, vcc, s0, v4
	v_addc_co_u32_e32 v5, vcc, v6, v5, vcc
	v_add_u32_e32 v6, 9, v2
	v_mov_b32_e32 v7, v3
	v_lshlrev_b64 v[6:7], 2, v[6:7]
	v_mov_b32_e32 v8, s1
	v_add_co_u32_e32 v6, vcc, s0, v6
	v_addc_co_u32_e32 v7, vcc, v8, v7, vcc
	;; [unrolled: 6-line block ×5, first 2 shown]
	v_add_u32_e32 v14, 13, v2
	v_mov_b32_e32 v15, v3
	v_lshlrev_b64 v[14:15], 2, v[14:15]
	v_mov_b32_e32 v16, s1
	v_add_co_u32_e32 v14, vcc, s0, v14
	v_add_u32_e32 v2, 14, v2
	v_addc_co_u32_e32 v15, vcc, v16, v15, vcc
	v_lshlrev_b64 v[2:3], 2, v[2:3]
	v_add_co_u32_e32 v2, vcc, s0, v2
	v_addc_co_u32_e32 v3, vcc, v16, v3, vcc
	global_load_dword v16, v[4:5], off
	global_load_dword v17, v[6:7], off
	;; [unrolled: 1-line block ×7, first 2 shown]
	v_and_b32_e32 v3, 0xc0, v0
	s_movk_i32 s0, 0x100
	v_xor_b32_e32 v3, 0xff, v3
	s_waitcnt vmcnt(13)
	v_add_f32_e32 v1, v1, v20
	s_waitcnt vmcnt(12)
	v_add_f32_e32 v1, v21, v1
	;; [unrolled: 2-line block ×14, first 2 shown]
	v_mbcnt_lo_u32_b32 v1, -1, 0
	v_mbcnt_hi_u32_b32 v1, -1, v1
	v_and_b32_e32 v4, 63, v1
	v_cmp_ne_u32_e32 vcc, 63, v4
	v_addc_co_u32_e32 v5, vcc, 0, v1, vcc
	v_lshlrev_b32_e32 v5, 2, v5
	ds_bpermute_b32 v5, v5, v2
	v_cmp_gt_u32_e32 vcc, s0, v0
	v_cndmask_b32_e32 v3, 0, v3, vcc
	v_add_u32_e32 v6, 1, v1
	v_cmp_lt_u32_e32 vcc, v6, v3
	s_waitcnt lgkmcnt(0)
	v_add_f32_e32 v5, v2, v5
	v_cndmask_b32_e32 v2, v2, v5, vcc
	v_cmp_gt_u32_e32 vcc, 62, v4
	v_cndmask_b32_e64 v5, 0, 1, vcc
	v_lshlrev_b32_e32 v5, 1, v5
	v_add_lshl_u32 v5, v5, v1, 2
	ds_bpermute_b32 v5, v5, v2
	v_add_u32_e32 v6, 2, v1
	v_cmp_lt_u32_e32 vcc, v6, v3
	v_add_u32_e32 v6, 4, v1
	s_waitcnt lgkmcnt(0)
	v_add_f32_e32 v5, v2, v5
	v_cndmask_b32_e32 v2, v2, v5, vcc
	v_cmp_gt_u32_e32 vcc, 60, v4
	v_cndmask_b32_e64 v5, 0, 1, vcc
	v_lshlrev_b32_e32 v5, 2, v5
	v_add_lshl_u32 v5, v5, v1, 2
	ds_bpermute_b32 v5, v5, v2
	v_cmp_lt_u32_e32 vcc, v6, v3
	v_add_u32_e32 v6, 8, v1
	s_waitcnt lgkmcnt(0)
	v_add_f32_e32 v5, v2, v5
	v_cndmask_b32_e32 v2, v2, v5, vcc
	v_cmp_gt_u32_e32 vcc, 56, v4
	v_cndmask_b32_e64 v5, 0, 1, vcc
	v_lshlrev_b32_e32 v5, 3, v5
	v_add_lshl_u32 v5, v5, v1, 2
	ds_bpermute_b32 v5, v5, v2
	;; [unrolled: 10-line block ×3, first 2 shown]
	v_cmp_lt_u32_e32 vcc, v6, v3
	s_waitcnt lgkmcnt(0)
	v_add_f32_e32 v5, v2, v5
	v_cndmask_b32_e32 v2, v2, v5, vcc
	v_cmp_gt_u32_e32 vcc, 32, v4
	v_cndmask_b32_e64 v4, 0, 1, vcc
	v_lshlrev_b32_e32 v4, 5, v4
	v_add_lshl_u32 v4, v4, v1, 2
	ds_bpermute_b32 v4, v4, v2
	v_add_u32_e32 v5, 32, v1
	v_cmp_lt_u32_e32 vcc, v5, v3
	s_waitcnt lgkmcnt(0)
	v_add_f32_e32 v4, v2, v4
	v_cndmask_b32_e32 v2, v2, v4, vcc
	v_cmp_eq_u32_e32 vcc, 0, v1
	s_and_saveexec_b64 s[0:1], vcc
	s_cbranch_execz .LBB95_2
; %bb.1:
	v_lshrrev_b32_e32 v3, 4, v0
	v_and_b32_e32 v3, 12, v3
	ds_write_b32 v3, v2
.LBB95_2:
	s_or_b64 exec, exec, s[0:1]
	v_cmp_gt_u32_e32 vcc, 64, v0
	s_waitcnt lgkmcnt(0)
	s_barrier
	s_and_saveexec_b64 s[0:1], vcc
	s_cbranch_execz .LBB95_4
; %bb.3:
	v_and_b32_e32 v2, 3, v1
	v_lshlrev_b32_e32 v3, 2, v2
	ds_read_b32 v3, v3
	v_cmp_ne_u32_e32 vcc, 3, v2
	v_addc_co_u32_e32 v4, vcc, 0, v1, vcc
	v_lshlrev_b32_e32 v4, 2, v4
	s_waitcnt lgkmcnt(0)
	ds_bpermute_b32 v4, v4, v3
	v_cmp_gt_u32_e32 vcc, 2, v2
	v_cndmask_b32_e64 v2, 0, 1, vcc
	v_lshlrev_b32_e32 v2, 1, v2
	v_add_lshl_u32 v1, v2, v1, 2
	s_waitcnt lgkmcnt(0)
	v_add_f32_e32 v3, v3, v4
	ds_bpermute_b32 v1, v1, v3
	s_waitcnt lgkmcnt(0)
	v_add_f32_e32 v2, v3, v1
.LBB95_4:
	s_or_b64 exec, exec, s[0:1]
	s_mov_b32 s7, 0
	v_cmp_eq_u32_e32 vcc, 0, v0
	s_and_saveexec_b64 s[0:1], vcc
	s_cbranch_execz .LBB95_6
; %bb.5:
	s_lshl_b64 s[0:1], s[6:7], 2
	s_add_u32 s0, s2, s0
	s_addc_u32 s1, s3, s1
	v_mov_b32_e32 v0, 0
	global_store_dword v0, v2, s[0:1]
.LBB95_6:
	s_endpgm
	.section	.rodata,"a",@progbits
	.p2align	6, 0x0
	.amdhsa_kernel _Z19reduce_array_kernelILj255ELj15ELN6hipcub20BlockReduceAlgorithmE0EfEvPT2_S3_
		.amdhsa_group_segment_fixed_size 16
		.amdhsa_private_segment_fixed_size 0
		.amdhsa_kernarg_size 16
		.amdhsa_user_sgpr_count 6
		.amdhsa_user_sgpr_private_segment_buffer 1
		.amdhsa_user_sgpr_dispatch_ptr 0
		.amdhsa_user_sgpr_queue_ptr 0
		.amdhsa_user_sgpr_kernarg_segment_ptr 1
		.amdhsa_user_sgpr_dispatch_id 0
		.amdhsa_user_sgpr_flat_scratch_init 0
		.amdhsa_user_sgpr_kernarg_preload_length 0
		.amdhsa_user_sgpr_kernarg_preload_offset 0
		.amdhsa_user_sgpr_private_segment_size 0
		.amdhsa_uses_dynamic_stack 0
		.amdhsa_system_sgpr_private_segment_wavefront_offset 0
		.amdhsa_system_sgpr_workgroup_id_x 1
		.amdhsa_system_sgpr_workgroup_id_y 0
		.amdhsa_system_sgpr_workgroup_id_z 0
		.amdhsa_system_sgpr_workgroup_info 0
		.amdhsa_system_vgpr_workitem_id 0
		.amdhsa_next_free_vgpr 30
		.amdhsa_next_free_sgpr 8
		.amdhsa_accum_offset 32
		.amdhsa_reserve_vcc 1
		.amdhsa_reserve_flat_scratch 0
		.amdhsa_float_round_mode_32 0
		.amdhsa_float_round_mode_16_64 0
		.amdhsa_float_denorm_mode_32 3
		.amdhsa_float_denorm_mode_16_64 3
		.amdhsa_dx10_clamp 1
		.amdhsa_ieee_mode 1
		.amdhsa_fp16_overflow 0
		.amdhsa_tg_split 0
		.amdhsa_exception_fp_ieee_invalid_op 0
		.amdhsa_exception_fp_denorm_src 0
		.amdhsa_exception_fp_ieee_div_zero 0
		.amdhsa_exception_fp_ieee_overflow 0
		.amdhsa_exception_fp_ieee_underflow 0
		.amdhsa_exception_fp_ieee_inexact 0
		.amdhsa_exception_int_div_zero 0
	.end_amdhsa_kernel
	.section	.text._Z19reduce_array_kernelILj255ELj15ELN6hipcub20BlockReduceAlgorithmE0EfEvPT2_S3_,"axG",@progbits,_Z19reduce_array_kernelILj255ELj15ELN6hipcub20BlockReduceAlgorithmE0EfEvPT2_S3_,comdat
.Lfunc_end95:
	.size	_Z19reduce_array_kernelILj255ELj15ELN6hipcub20BlockReduceAlgorithmE0EfEvPT2_S3_, .Lfunc_end95-_Z19reduce_array_kernelILj255ELj15ELN6hipcub20BlockReduceAlgorithmE0EfEvPT2_S3_
                                        ; -- End function
	.section	.AMDGPU.csdata,"",@progbits
; Kernel info:
; codeLenInByte = 1180
; NumSgprs: 12
; NumVgprs: 30
; NumAgprs: 0
; TotalNumVgprs: 30
; ScratchSize: 0
; MemoryBound: 0
; FloatMode: 240
; IeeeMode: 1
; LDSByteSize: 16 bytes/workgroup (compile time only)
; SGPRBlocks: 1
; VGPRBlocks: 3
; NumSGPRsForWavesPerEU: 12
; NumVGPRsForWavesPerEU: 30
; AccumOffset: 32
; Occupancy: 8
; WaveLimiterHint : 0
; COMPUTE_PGM_RSRC2:SCRATCH_EN: 0
; COMPUTE_PGM_RSRC2:USER_SGPR: 6
; COMPUTE_PGM_RSRC2:TRAP_HANDLER: 0
; COMPUTE_PGM_RSRC2:TGID_X_EN: 1
; COMPUTE_PGM_RSRC2:TGID_Y_EN: 0
; COMPUTE_PGM_RSRC2:TGID_Z_EN: 0
; COMPUTE_PGM_RSRC2:TIDIG_COMP_CNT: 0
; COMPUTE_PGM_RSRC3_GFX90A:ACCUM_OFFSET: 7
; COMPUTE_PGM_RSRC3_GFX90A:TG_SPLIT: 0
	.section	.text._Z19reduce_array_kernelILj162ELj7ELN6hipcub20BlockReduceAlgorithmE0EfEvPT2_S3_,"axG",@progbits,_Z19reduce_array_kernelILj162ELj7ELN6hipcub20BlockReduceAlgorithmE0EfEvPT2_S3_,comdat
	.protected	_Z19reduce_array_kernelILj162ELj7ELN6hipcub20BlockReduceAlgorithmE0EfEvPT2_S3_ ; -- Begin function _Z19reduce_array_kernelILj162ELj7ELN6hipcub20BlockReduceAlgorithmE0EfEvPT2_S3_
	.globl	_Z19reduce_array_kernelILj162ELj7ELN6hipcub20BlockReduceAlgorithmE0EfEvPT2_S3_
	.p2align	8
	.type	_Z19reduce_array_kernelILj162ELj7ELN6hipcub20BlockReduceAlgorithmE0EfEvPT2_S3_,@function
_Z19reduce_array_kernelILj162ELj7ELN6hipcub20BlockReduceAlgorithmE0EfEvPT2_S3_: ; @_Z19reduce_array_kernelILj162ELj7ELN6hipcub20BlockReduceAlgorithmE0EfEvPT2_S3_
; %bb.0:
	s_load_dwordx4 s[0:3], s[4:5], 0x0
	s_mul_i32 s4, s6, 0xa2
	v_add_u32_e32 v1, s4, v0
	v_mul_lo_u32 v2, v1, 7
	v_mov_b32_e32 v3, 0
	v_lshlrev_b64 v[4:5], 2, v[2:3]
	s_waitcnt lgkmcnt(0)
	v_mov_b32_e32 v1, s1
	v_add_co_u32_e32 v4, vcc, s0, v4
	v_add_u32_e32 v6, 1, v2
	v_mov_b32_e32 v7, v3
	v_addc_co_u32_e32 v5, vcc, v1, v5, vcc
	v_lshlrev_b64 v[6:7], 2, v[6:7]
	v_add_co_u32_e32 v6, vcc, s0, v6
	v_add_u32_e32 v8, 2, v2
	v_mov_b32_e32 v9, v3
	v_addc_co_u32_e32 v7, vcc, v1, v7, vcc
	v_lshlrev_b64 v[8:9], 2, v[8:9]
	;; [unrolled: 5-line block ×5, first 2 shown]
	v_add_co_u32_e32 v14, vcc, s0, v14
	v_add_u32_e32 v2, 6, v2
	v_addc_co_u32_e32 v15, vcc, v1, v15, vcc
	v_lshlrev_b64 v[2:3], 2, v[2:3]
	v_add_co_u32_e32 v2, vcc, s0, v2
	v_addc_co_u32_e32 v3, vcc, v1, v3, vcc
	global_load_dword v16, v[4:5], off
	global_load_dword v17, v[6:7], off
	;; [unrolled: 1-line block ×7, first 2 shown]
	v_mbcnt_lo_u32_b32 v1, -1, 0
	s_movk_i32 s0, 0xc0
	v_mbcnt_hi_u32_b32 v1, -1, v1
	v_and_b32_e32 v2, 0xc0, v0
	v_sub_u32_e32 v2, 0xa2, v2
	v_and_b32_e32 v3, 63, v1
	v_cmp_gt_u32_e32 vcc, s0, v0
	v_cndmask_b32_e32 v2, 0, v2, vcc
	v_cmp_ne_u32_e32 vcc, 63, v3
	v_addc_co_u32_e32 v8, vcc, 0, v1, vcc
	v_lshlrev_b32_e32 v8, 2, v8
	v_cmp_gt_u32_e32 vcc, 62, v3
	v_add_u32_e32 v4, 1, v1
	v_cndmask_b32_e64 v10, 0, 1, vcc
	v_lshlrev_b32_e32 v10, 1, v10
	v_cmp_lt_u32_e32 vcc, v4, v2
	v_add_lshl_u32 v10, v10, v1, 2
	v_add_u32_e32 v5, 2, v1
	v_add_u32_e32 v6, 4, v1
	v_add_u32_e32 v7, 8, v1
	s_waitcnt vmcnt(5)
	v_add_f32_e32 v9, v16, v17
	s_waitcnt vmcnt(4)
	v_add_f32_e32 v9, v18, v9
	;; [unrolled: 2-line block ×6, first 2 shown]
	ds_bpermute_b32 v8, v8, v9
	s_waitcnt lgkmcnt(0)
	v_add_f32_e32 v8, v9, v8
	v_cndmask_b32_e32 v4, v9, v8, vcc
	ds_bpermute_b32 v8, v10, v4
	v_cmp_gt_u32_e32 vcc, 60, v3
	v_cndmask_b32_e64 v9, 0, 1, vcc
	v_lshlrev_b32_e32 v9, 2, v9
	v_cmp_lt_u32_e32 vcc, v5, v2
	s_waitcnt lgkmcnt(0)
	v_add_f32_e32 v8, v4, v8
	v_add_lshl_u32 v9, v9, v1, 2
	v_cndmask_b32_e32 v4, v4, v8, vcc
	ds_bpermute_b32 v5, v9, v4
	v_cmp_gt_u32_e32 vcc, 56, v3
	v_cndmask_b32_e64 v8, 0, 1, vcc
	v_lshlrev_b32_e32 v8, 3, v8
	v_cmp_lt_u32_e32 vcc, v6, v2
	s_waitcnt lgkmcnt(0)
	v_add_f32_e32 v5, v4, v5
	v_add_lshl_u32 v8, v8, v1, 2
	;; [unrolled: 9-line block ×3, first 2 shown]
	v_cndmask_b32_e32 v4, v4, v5, vcc
	ds_bpermute_b32 v5, v6, v4
	v_cmp_gt_u32_e32 vcc, 32, v3
	v_add_u32_e32 v6, 16, v1
	v_cndmask_b32_e64 v3, 0, 1, vcc
	v_cmp_lt_u32_e32 vcc, v6, v2
	s_waitcnt lgkmcnt(0)
	v_add_f32_e32 v5, v4, v5
	v_lshlrev_b32_e32 v3, 5, v3
	v_cndmask_b32_e32 v4, v4, v5, vcc
	v_add_lshl_u32 v3, v3, v1, 2
	ds_bpermute_b32 v3, v3, v4
	v_add_u32_e32 v5, 32, v1
	v_cmp_lt_u32_e32 vcc, v5, v2
	s_waitcnt lgkmcnt(0)
	v_add_f32_e32 v3, v4, v3
	v_cndmask_b32_e32 v2, v4, v3, vcc
	v_cmp_eq_u32_e32 vcc, 0, v1
	s_and_saveexec_b64 s[0:1], vcc
	s_cbranch_execz .LBB96_2
; %bb.1:
	v_lshrrev_b32_e32 v3, 4, v0
	v_and_b32_e32 v3, 12, v3
	ds_write_b32 v3, v2
.LBB96_2:
	s_or_b64 exec, exec, s[0:1]
	v_cmp_gt_u32_e32 vcc, 64, v0
	s_waitcnt lgkmcnt(0)
	s_barrier
	s_and_saveexec_b64 s[4:5], vcc
	s_cbranch_execz .LBB96_4
; %bb.3:
	s_mov_b32 s0, 0x55555556
	v_mul_hi_u32 v2, v1, s0
	v_mul_u32_u24_e32 v2, 3, v2
	v_sub_u32_e32 v2, v1, v2
	v_lshlrev_b32_e32 v2, 2, v2
	ds_read_b32 v2, v2
	v_and_b32_e32 v3, 3, v1
	v_cmp_ne_u32_e32 vcc, 3, v3
	v_addc_co_u32_e32 v4, vcc, 0, v1, vcc
	v_lshlrev_b32_e32 v4, 2, v4
	s_waitcnt lgkmcnt(0)
	ds_bpermute_b32 v4, v4, v2
	v_cmp_gt_u32_e32 vcc, 2, v3
	v_cndmask_b32_e64 v6, 0, 1, vcc
	v_lshlrev_b32_e32 v6, 1, v6
	v_add_lshl_u32 v1, v6, v1, 2
	s_waitcnt lgkmcnt(0)
	v_add_f32_e32 v4, v2, v4
	v_cndmask_b32_e32 v5, v2, v4, vcc
	ds_bpermute_b32 v1, v1, v5
	v_cmp_eq_u32_e64 s[0:1], 0, v3
	s_waitcnt lgkmcnt(0)
	v_add_f32_e32 v1, v4, v1
	v_cndmask_b32_e64 v1, v4, v1, s[0:1]
	v_cndmask_b32_e32 v2, v2, v1, vcc
.LBB96_4:
	s_or_b64 exec, exec, s[4:5]
	s_mov_b32 s7, 0
	v_cmp_eq_u32_e32 vcc, 0, v0
	s_and_saveexec_b64 s[0:1], vcc
	s_cbranch_execz .LBB96_6
; %bb.5:
	s_lshl_b64 s[0:1], s[6:7], 2
	s_add_u32 s0, s2, s0
	s_addc_u32 s1, s3, s1
	v_mov_b32_e32 v0, 0
	global_store_dword v0, v2, s[0:1]
.LBB96_6:
	s_endpgm
	.section	.rodata,"a",@progbits
	.p2align	6, 0x0
	.amdhsa_kernel _Z19reduce_array_kernelILj162ELj7ELN6hipcub20BlockReduceAlgorithmE0EfEvPT2_S3_
		.amdhsa_group_segment_fixed_size 12
		.amdhsa_private_segment_fixed_size 0
		.amdhsa_kernarg_size 16
		.amdhsa_user_sgpr_count 6
		.amdhsa_user_sgpr_private_segment_buffer 1
		.amdhsa_user_sgpr_dispatch_ptr 0
		.amdhsa_user_sgpr_queue_ptr 0
		.amdhsa_user_sgpr_kernarg_segment_ptr 1
		.amdhsa_user_sgpr_dispatch_id 0
		.amdhsa_user_sgpr_flat_scratch_init 0
		.amdhsa_user_sgpr_kernarg_preload_length 0
		.amdhsa_user_sgpr_kernarg_preload_offset 0
		.amdhsa_user_sgpr_private_segment_size 0
		.amdhsa_uses_dynamic_stack 0
		.amdhsa_system_sgpr_private_segment_wavefront_offset 0
		.amdhsa_system_sgpr_workgroup_id_x 1
		.amdhsa_system_sgpr_workgroup_id_y 0
		.amdhsa_system_sgpr_workgroup_id_z 0
		.amdhsa_system_sgpr_workgroup_info 0
		.amdhsa_system_vgpr_workitem_id 0
		.amdhsa_next_free_vgpr 23
		.amdhsa_next_free_sgpr 8
		.amdhsa_accum_offset 24
		.amdhsa_reserve_vcc 1
		.amdhsa_reserve_flat_scratch 0
		.amdhsa_float_round_mode_32 0
		.amdhsa_float_round_mode_16_64 0
		.amdhsa_float_denorm_mode_32 3
		.amdhsa_float_denorm_mode_16_64 3
		.amdhsa_dx10_clamp 1
		.amdhsa_ieee_mode 1
		.amdhsa_fp16_overflow 0
		.amdhsa_tg_split 0
		.amdhsa_exception_fp_ieee_invalid_op 0
		.amdhsa_exception_fp_denorm_src 0
		.amdhsa_exception_fp_ieee_div_zero 0
		.amdhsa_exception_fp_ieee_overflow 0
		.amdhsa_exception_fp_ieee_underflow 0
		.amdhsa_exception_fp_ieee_inexact 0
		.amdhsa_exception_int_div_zero 0
	.end_amdhsa_kernel
	.section	.text._Z19reduce_array_kernelILj162ELj7ELN6hipcub20BlockReduceAlgorithmE0EfEvPT2_S3_,"axG",@progbits,_Z19reduce_array_kernelILj162ELj7ELN6hipcub20BlockReduceAlgorithmE0EfEvPT2_S3_,comdat
.Lfunc_end96:
	.size	_Z19reduce_array_kernelILj162ELj7ELN6hipcub20BlockReduceAlgorithmE0EfEvPT2_S3_, .Lfunc_end96-_Z19reduce_array_kernelILj162ELj7ELN6hipcub20BlockReduceAlgorithmE0EfEvPT2_S3_
                                        ; -- End function
	.section	.AMDGPU.csdata,"",@progbits
; Kernel info:
; codeLenInByte = 884
; NumSgprs: 12
; NumVgprs: 23
; NumAgprs: 0
; TotalNumVgprs: 23
; ScratchSize: 0
; MemoryBound: 0
; FloatMode: 240
; IeeeMode: 1
; LDSByteSize: 12 bytes/workgroup (compile time only)
; SGPRBlocks: 1
; VGPRBlocks: 2
; NumSGPRsForWavesPerEU: 12
; NumVGPRsForWavesPerEU: 23
; AccumOffset: 24
; Occupancy: 8
; WaveLimiterHint : 0
; COMPUTE_PGM_RSRC2:SCRATCH_EN: 0
; COMPUTE_PGM_RSRC2:USER_SGPR: 6
; COMPUTE_PGM_RSRC2:TRAP_HANDLER: 0
; COMPUTE_PGM_RSRC2:TGID_X_EN: 1
; COMPUTE_PGM_RSRC2:TGID_Y_EN: 0
; COMPUTE_PGM_RSRC2:TGID_Z_EN: 0
; COMPUTE_PGM_RSRC2:TIDIG_COMP_CNT: 0
; COMPUTE_PGM_RSRC3_GFX90A:ACCUM_OFFSET: 5
; COMPUTE_PGM_RSRC3_GFX90A:TG_SPLIT: 0
	.section	.text._Z19reduce_array_kernelILj65ELj5ELN6hipcub20BlockReduceAlgorithmE0EfEvPT2_S3_,"axG",@progbits,_Z19reduce_array_kernelILj65ELj5ELN6hipcub20BlockReduceAlgorithmE0EfEvPT2_S3_,comdat
	.protected	_Z19reduce_array_kernelILj65ELj5ELN6hipcub20BlockReduceAlgorithmE0EfEvPT2_S3_ ; -- Begin function _Z19reduce_array_kernelILj65ELj5ELN6hipcub20BlockReduceAlgorithmE0EfEvPT2_S3_
	.globl	_Z19reduce_array_kernelILj65ELj5ELN6hipcub20BlockReduceAlgorithmE0EfEvPT2_S3_
	.p2align	8
	.type	_Z19reduce_array_kernelILj65ELj5ELN6hipcub20BlockReduceAlgorithmE0EfEvPT2_S3_,@function
_Z19reduce_array_kernelILj65ELj5ELN6hipcub20BlockReduceAlgorithmE0EfEvPT2_S3_: ; @_Z19reduce_array_kernelILj65ELj5ELN6hipcub20BlockReduceAlgorithmE0EfEvPT2_S3_
; %bb.0:
	s_load_dwordx4 s[0:3], s[4:5], 0x0
	s_mul_i32 s4, s6, 0x41
	v_add_u32_e32 v1, s4, v0
	v_lshl_add_u32 v2, v1, 2, v1
	v_mov_b32_e32 v3, 0
	v_lshlrev_b64 v[4:5], 2, v[2:3]
	s_waitcnt lgkmcnt(0)
	v_mov_b32_e32 v1, s1
	v_add_co_u32_e32 v4, vcc, s0, v4
	v_add_u32_e32 v6, 1, v2
	v_mov_b32_e32 v7, v3
	v_addc_co_u32_e32 v5, vcc, v1, v5, vcc
	v_lshlrev_b64 v[6:7], 2, v[6:7]
	v_add_co_u32_e32 v6, vcc, s0, v6
	v_add_u32_e32 v8, 2, v2
	v_mov_b32_e32 v9, v3
	v_addc_co_u32_e32 v7, vcc, v1, v7, vcc
	v_lshlrev_b64 v[8:9], 2, v[8:9]
	;; [unrolled: 5-line block ×3, first 2 shown]
	v_add_co_u32_e32 v10, vcc, s0, v10
	v_add_u32_e32 v2, 4, v2
	v_addc_co_u32_e32 v11, vcc, v1, v11, vcc
	v_lshlrev_b64 v[2:3], 2, v[2:3]
	v_add_co_u32_e32 v2, vcc, s0, v2
	v_addc_co_u32_e32 v3, vcc, v1, v3, vcc
	global_load_dword v12, v[4:5], off
	global_load_dword v13, v[6:7], off
	;; [unrolled: 1-line block ×5, first 2 shown]
	v_mbcnt_lo_u32_b32 v1, -1, 0
	s_movk_i32 s0, 0x80
	v_mbcnt_hi_u32_b32 v1, -1, v1
	v_and_b32_e32 v2, 64, v0
	v_xor_b32_e32 v2, 0x41, v2
	v_and_b32_e32 v3, 63, v1
	v_cmp_gt_u32_e32 vcc, s0, v0
	v_cndmask_b32_e32 v2, 0, v2, vcc
	v_cmp_ne_u32_e32 vcc, 63, v3
	v_addc_co_u32_e32 v9, vcc, 0, v1, vcc
	v_lshlrev_b32_e32 v9, 2, v9
	v_cmp_gt_u32_e32 vcc, 62, v3
	v_add_u32_e32 v4, 1, v1
	v_cndmask_b32_e64 v11, 0, 1, vcc
	v_lshlrev_b32_e32 v11, 1, v11
	v_cmp_lt_u32_e32 vcc, v4, v2
	v_add_lshl_u32 v11, v11, v1, 2
	v_add_u32_e32 v5, 2, v1
	v_add_u32_e32 v6, 4, v1
	;; [unrolled: 1-line block ×4, first 2 shown]
	s_waitcnt vmcnt(3)
	v_add_f32_e32 v10, v12, v13
	s_waitcnt vmcnt(2)
	v_add_f32_e32 v10, v14, v10
	;; [unrolled: 2-line block ×4, first 2 shown]
	ds_bpermute_b32 v9, v9, v10
	s_waitcnt lgkmcnt(0)
	v_add_f32_e32 v9, v10, v9
	v_cndmask_b32_e32 v4, v10, v9, vcc
	ds_bpermute_b32 v9, v11, v4
	v_cmp_gt_u32_e32 vcc, 60, v3
	v_cndmask_b32_e64 v10, 0, 1, vcc
	v_lshlrev_b32_e32 v10, 2, v10
	v_cmp_lt_u32_e32 vcc, v5, v2
	s_waitcnt lgkmcnt(0)
	v_add_f32_e32 v9, v4, v9
	v_add_lshl_u32 v10, v10, v1, 2
	v_cndmask_b32_e32 v4, v4, v9, vcc
	ds_bpermute_b32 v5, v10, v4
	v_cmp_gt_u32_e32 vcc, 56, v3
	v_cndmask_b32_e64 v9, 0, 1, vcc
	v_lshlrev_b32_e32 v9, 3, v9
	v_cmp_lt_u32_e32 vcc, v6, v2
	s_waitcnt lgkmcnt(0)
	v_add_f32_e32 v5, v4, v5
	v_add_lshl_u32 v9, v9, v1, 2
	;; [unrolled: 9-line block ×4, first 2 shown]
	v_cndmask_b32_e32 v4, v4, v5, vcc
	ds_bpermute_b32 v3, v3, v4
	v_add_u32_e32 v5, 32, v1
	v_cmp_lt_u32_e32 vcc, v5, v2
	s_waitcnt lgkmcnt(0)
	v_add_f32_e32 v3, v4, v3
	v_cndmask_b32_e32 v2, v4, v3, vcc
	v_cmp_eq_u32_e32 vcc, 0, v1
	s_and_saveexec_b64 s[0:1], vcc
	s_cbranch_execz .LBB97_2
; %bb.1:
	v_lshrrev_b32_e32 v3, 4, v0
	v_and_b32_e32 v3, 4, v3
	ds_write_b32 v3, v2
.LBB97_2:
	s_or_b64 exec, exec, s[0:1]
	v_cmp_gt_u32_e32 vcc, 64, v0
	s_waitcnt lgkmcnt(0)
	s_barrier
	s_and_saveexec_b64 s[0:1], vcc
	s_cbranch_execz .LBB97_4
; %bb.3:
	v_and_b32_e32 v2, 1, v1
	v_lshlrev_b32_e32 v2, 2, v2
	ds_read_b32 v2, v2
	v_lshl_or_b32 v1, v1, 2, 4
	s_waitcnt lgkmcnt(0)
	ds_bpermute_b32 v1, v1, v2
	s_waitcnt lgkmcnt(0)
	v_add_f32_e32 v2, v2, v1
.LBB97_4:
	s_or_b64 exec, exec, s[0:1]
	s_mov_b32 s7, 0
	v_cmp_eq_u32_e32 vcc, 0, v0
	s_and_saveexec_b64 s[0:1], vcc
	s_cbranch_execz .LBB97_6
; %bb.5:
	s_lshl_b64 s[0:1], s[6:7], 2
	s_add_u32 s0, s2, s0
	s_addc_u32 s1, s3, s1
	v_mov_b32_e32 v0, 0
	global_store_dword v0, v2, s[0:1]
.LBB97_6:
	s_endpgm
	.section	.rodata,"a",@progbits
	.p2align	6, 0x0
	.amdhsa_kernel _Z19reduce_array_kernelILj65ELj5ELN6hipcub20BlockReduceAlgorithmE0EfEvPT2_S3_
		.amdhsa_group_segment_fixed_size 8
		.amdhsa_private_segment_fixed_size 0
		.amdhsa_kernarg_size 16
		.amdhsa_user_sgpr_count 6
		.amdhsa_user_sgpr_private_segment_buffer 1
		.amdhsa_user_sgpr_dispatch_ptr 0
		.amdhsa_user_sgpr_queue_ptr 0
		.amdhsa_user_sgpr_kernarg_segment_ptr 1
		.amdhsa_user_sgpr_dispatch_id 0
		.amdhsa_user_sgpr_flat_scratch_init 0
		.amdhsa_user_sgpr_kernarg_preload_length 0
		.amdhsa_user_sgpr_kernarg_preload_offset 0
		.amdhsa_user_sgpr_private_segment_size 0
		.amdhsa_uses_dynamic_stack 0
		.amdhsa_system_sgpr_private_segment_wavefront_offset 0
		.amdhsa_system_sgpr_workgroup_id_x 1
		.amdhsa_system_sgpr_workgroup_id_y 0
		.amdhsa_system_sgpr_workgroup_id_z 0
		.amdhsa_system_sgpr_workgroup_info 0
		.amdhsa_system_vgpr_workitem_id 0
		.amdhsa_next_free_vgpr 17
		.amdhsa_next_free_sgpr 8
		.amdhsa_accum_offset 20
		.amdhsa_reserve_vcc 1
		.amdhsa_reserve_flat_scratch 0
		.amdhsa_float_round_mode_32 0
		.amdhsa_float_round_mode_16_64 0
		.amdhsa_float_denorm_mode_32 3
		.amdhsa_float_denorm_mode_16_64 3
		.amdhsa_dx10_clamp 1
		.amdhsa_ieee_mode 1
		.amdhsa_fp16_overflow 0
		.amdhsa_tg_split 0
		.amdhsa_exception_fp_ieee_invalid_op 0
		.amdhsa_exception_fp_denorm_src 0
		.amdhsa_exception_fp_ieee_div_zero 0
		.amdhsa_exception_fp_ieee_overflow 0
		.amdhsa_exception_fp_ieee_underflow 0
		.amdhsa_exception_fp_ieee_inexact 0
		.amdhsa_exception_int_div_zero 0
	.end_amdhsa_kernel
	.section	.text._Z19reduce_array_kernelILj65ELj5ELN6hipcub20BlockReduceAlgorithmE0EfEvPT2_S3_,"axG",@progbits,_Z19reduce_array_kernelILj65ELj5ELN6hipcub20BlockReduceAlgorithmE0EfEvPT2_S3_,comdat
.Lfunc_end97:
	.size	_Z19reduce_array_kernelILj65ELj5ELN6hipcub20BlockReduceAlgorithmE0EfEvPT2_S3_, .Lfunc_end97-_Z19reduce_array_kernelILj65ELj5ELN6hipcub20BlockReduceAlgorithmE0EfEvPT2_S3_
                                        ; -- End function
	.section	.AMDGPU.csdata,"",@progbits
; Kernel info:
; codeLenInByte = 708
; NumSgprs: 12
; NumVgprs: 17
; NumAgprs: 0
; TotalNumVgprs: 17
; ScratchSize: 0
; MemoryBound: 0
; FloatMode: 240
; IeeeMode: 1
; LDSByteSize: 8 bytes/workgroup (compile time only)
; SGPRBlocks: 1
; VGPRBlocks: 2
; NumSGPRsForWavesPerEU: 12
; NumVGPRsForWavesPerEU: 17
; AccumOffset: 20
; Occupancy: 8
; WaveLimiterHint : 0
; COMPUTE_PGM_RSRC2:SCRATCH_EN: 0
; COMPUTE_PGM_RSRC2:USER_SGPR: 6
; COMPUTE_PGM_RSRC2:TRAP_HANDLER: 0
; COMPUTE_PGM_RSRC2:TGID_X_EN: 1
; COMPUTE_PGM_RSRC2:TGID_Y_EN: 0
; COMPUTE_PGM_RSRC2:TGID_Z_EN: 0
; COMPUTE_PGM_RSRC2:TIDIG_COMP_CNT: 0
; COMPUTE_PGM_RSRC3_GFX90A:ACCUM_OFFSET: 4
; COMPUTE_PGM_RSRC3_GFX90A:TG_SPLIT: 0
	.section	.text._Z19reduce_array_kernelILj37ELj2ELN6hipcub20BlockReduceAlgorithmE0EfEvPT2_S3_,"axG",@progbits,_Z19reduce_array_kernelILj37ELj2ELN6hipcub20BlockReduceAlgorithmE0EfEvPT2_S3_,comdat
	.protected	_Z19reduce_array_kernelILj37ELj2ELN6hipcub20BlockReduceAlgorithmE0EfEvPT2_S3_ ; -- Begin function _Z19reduce_array_kernelILj37ELj2ELN6hipcub20BlockReduceAlgorithmE0EfEvPT2_S3_
	.globl	_Z19reduce_array_kernelILj37ELj2ELN6hipcub20BlockReduceAlgorithmE0EfEvPT2_S3_
	.p2align	8
	.type	_Z19reduce_array_kernelILj37ELj2ELN6hipcub20BlockReduceAlgorithmE0EfEvPT2_S3_,@function
_Z19reduce_array_kernelILj37ELj2ELN6hipcub20BlockReduceAlgorithmE0EfEvPT2_S3_: ; @_Z19reduce_array_kernelILj37ELj2ELN6hipcub20BlockReduceAlgorithmE0EfEvPT2_S3_
; %bb.0:
	s_load_dwordx4 s[0:3], s[4:5], 0x0
	s_mul_i32 s4, s6, 37
	v_add_lshl_u32 v2, s4, v0, 1
	v_mov_b32_e32 v3, 0
	v_lshlrev_b64 v[4:5], 2, v[2:3]
	s_waitcnt lgkmcnt(0)
	v_mov_b32_e32 v1, s1
	v_add_co_u32_e32 v4, vcc, s0, v4
	v_addc_co_u32_e32 v5, vcc, v1, v5, vcc
	global_load_dwordx2 v[4:5], v[4:5], off
	v_mbcnt_lo_u32_b32 v1, -1, 0
	v_mbcnt_hi_u32_b32 v1, -1, v1
	v_cmp_gt_u32_e32 vcc, 64, v0
	v_and_b32_e32 v6, 63, v1
	v_cndmask_b32_e64 v2, 0, 37, vcc
	v_cmp_ne_u32_e32 vcc, 63, v6
	v_addc_co_u32_e32 v11, vcc, 0, v1, vcc
	v_lshlrev_b32_e32 v11, 2, v11
	v_cmp_gt_u32_e32 vcc, 62, v6
	v_add_u32_e32 v7, 1, v1
	v_add_u32_e32 v8, 2, v1
	v_add_u32_e32 v9, 4, v1
	v_add_u32_e32 v10, 8, v1
	s_mov_b32 s7, 0
	s_waitcnt vmcnt(0)
	v_add_f32_e32 v4, v4, v5
	ds_bpermute_b32 v5, v11, v4
	v_cndmask_b32_e64 v11, 0, 1, vcc
	v_lshlrev_b32_e32 v11, 1, v11
	v_cmp_lt_u32_e32 vcc, v7, v2
	v_add_lshl_u32 v11, v11, v1, 2
	s_waitcnt lgkmcnt(0)
	v_add_f32_e32 v5, v4, v5
	v_cndmask_b32_e32 v4, v4, v5, vcc
	ds_bpermute_b32 v5, v11, v4
	v_cmp_gt_u32_e32 vcc, 60, v6
	v_cndmask_b32_e64 v7, 0, 1, vcc
	v_lshlrev_b32_e32 v7, 2, v7
	v_cmp_lt_u32_e32 vcc, v8, v2
	s_waitcnt lgkmcnt(0)
	v_add_f32_e32 v5, v4, v5
	v_add_lshl_u32 v7, v7, v1, 2
	v_cndmask_b32_e32 v4, v4, v5, vcc
	ds_bpermute_b32 v5, v7, v4
	v_cmp_gt_u32_e32 vcc, 56, v6
	v_cndmask_b32_e64 v7, 0, 1, vcc
	v_lshlrev_b32_e32 v7, 3, v7
	v_cmp_lt_u32_e32 vcc, v9, v2
	s_waitcnt lgkmcnt(0)
	v_add_f32_e32 v5, v4, v5
	v_add_lshl_u32 v7, v7, v1, 2
	;; [unrolled: 9-line block ×3, first 2 shown]
	v_cndmask_b32_e32 v4, v4, v5, vcc
	ds_bpermute_b32 v5, v7, v4
	v_cmp_gt_u32_e32 vcc, 32, v6
	v_add_u32_e32 v7, 16, v1
	v_cndmask_b32_e64 v6, 0, 1, vcc
	v_lshlrev_b32_e32 v6, 5, v6
	s_waitcnt lgkmcnt(0)
	v_add_f32_e32 v5, v4, v5
	v_cmp_lt_u32_e32 vcc, v7, v2
	v_cndmask_b32_e32 v2, v4, v5, vcc
	v_add_lshl_u32 v4, v6, v1, 2
	ds_bpermute_b32 v4, v4, v2
	v_cmp_eq_u32_e32 vcc, 0, v0
	s_and_saveexec_b64 s[0:1], vcc
	s_cbranch_execz .LBB98_2
; %bb.1:
	s_lshl_b64 s[0:1], s[6:7], 2
	v_add_u32_e32 v0, 32, v1
	s_add_u32 s0, s2, s0
	s_waitcnt lgkmcnt(0)
	v_add_f32_e32 v1, v2, v4
	v_cmp_gt_u32_e32 vcc, 37, v0
	s_addc_u32 s1, s3, s1
	v_cndmask_b32_e32 v0, v2, v1, vcc
	global_store_dword v3, v0, s[0:1]
.LBB98_2:
	s_endpgm
	.section	.rodata,"a",@progbits
	.p2align	6, 0x0
	.amdhsa_kernel _Z19reduce_array_kernelILj37ELj2ELN6hipcub20BlockReduceAlgorithmE0EfEvPT2_S3_
		.amdhsa_group_segment_fixed_size 0
		.amdhsa_private_segment_fixed_size 0
		.amdhsa_kernarg_size 16
		.amdhsa_user_sgpr_count 6
		.amdhsa_user_sgpr_private_segment_buffer 1
		.amdhsa_user_sgpr_dispatch_ptr 0
		.amdhsa_user_sgpr_queue_ptr 0
		.amdhsa_user_sgpr_kernarg_segment_ptr 1
		.amdhsa_user_sgpr_dispatch_id 0
		.amdhsa_user_sgpr_flat_scratch_init 0
		.amdhsa_user_sgpr_kernarg_preload_length 0
		.amdhsa_user_sgpr_kernarg_preload_offset 0
		.amdhsa_user_sgpr_private_segment_size 0
		.amdhsa_uses_dynamic_stack 0
		.amdhsa_system_sgpr_private_segment_wavefront_offset 0
		.amdhsa_system_sgpr_workgroup_id_x 1
		.amdhsa_system_sgpr_workgroup_id_y 0
		.amdhsa_system_sgpr_workgroup_id_z 0
		.amdhsa_system_sgpr_workgroup_info 0
		.amdhsa_system_vgpr_workitem_id 0
		.amdhsa_next_free_vgpr 12
		.amdhsa_next_free_sgpr 8
		.amdhsa_accum_offset 12
		.amdhsa_reserve_vcc 1
		.amdhsa_reserve_flat_scratch 0
		.amdhsa_float_round_mode_32 0
		.amdhsa_float_round_mode_16_64 0
		.amdhsa_float_denorm_mode_32 3
		.amdhsa_float_denorm_mode_16_64 3
		.amdhsa_dx10_clamp 1
		.amdhsa_ieee_mode 1
		.amdhsa_fp16_overflow 0
		.amdhsa_tg_split 0
		.amdhsa_exception_fp_ieee_invalid_op 0
		.amdhsa_exception_fp_denorm_src 0
		.amdhsa_exception_fp_ieee_div_zero 0
		.amdhsa_exception_fp_ieee_overflow 0
		.amdhsa_exception_fp_ieee_underflow 0
		.amdhsa_exception_fp_ieee_inexact 0
		.amdhsa_exception_int_div_zero 0
	.end_amdhsa_kernel
	.section	.text._Z19reduce_array_kernelILj37ELj2ELN6hipcub20BlockReduceAlgorithmE0EfEvPT2_S3_,"axG",@progbits,_Z19reduce_array_kernelILj37ELj2ELN6hipcub20BlockReduceAlgorithmE0EfEvPT2_S3_,comdat
.Lfunc_end98:
	.size	_Z19reduce_array_kernelILj37ELj2ELN6hipcub20BlockReduceAlgorithmE0EfEvPT2_S3_, .Lfunc_end98-_Z19reduce_array_kernelILj37ELj2ELN6hipcub20BlockReduceAlgorithmE0EfEvPT2_S3_
                                        ; -- End function
	.section	.AMDGPU.csdata,"",@progbits
; Kernel info:
; codeLenInByte = 436
; NumSgprs: 12
; NumVgprs: 12
; NumAgprs: 0
; TotalNumVgprs: 12
; ScratchSize: 0
; MemoryBound: 0
; FloatMode: 240
; IeeeMode: 1
; LDSByteSize: 0 bytes/workgroup (compile time only)
; SGPRBlocks: 1
; VGPRBlocks: 1
; NumSGPRsForWavesPerEU: 12
; NumVGPRsForWavesPerEU: 12
; AccumOffset: 12
; Occupancy: 8
; WaveLimiterHint : 0
; COMPUTE_PGM_RSRC2:SCRATCH_EN: 0
; COMPUTE_PGM_RSRC2:USER_SGPR: 6
; COMPUTE_PGM_RSRC2:TRAP_HANDLER: 0
; COMPUTE_PGM_RSRC2:TGID_X_EN: 1
; COMPUTE_PGM_RSRC2:TGID_Y_EN: 0
; COMPUTE_PGM_RSRC2:TGID_Z_EN: 0
; COMPUTE_PGM_RSRC2:TIDIG_COMP_CNT: 0
; COMPUTE_PGM_RSRC3_GFX90A:ACCUM_OFFSET: 2
; COMPUTE_PGM_RSRC3_GFX90A:TG_SPLIT: 0
	.section	.text._Z19reduce_array_kernelILj1024ELj1ELN6hipcub20BlockReduceAlgorithmE0EfEvPT2_S3_,"axG",@progbits,_Z19reduce_array_kernelILj1024ELj1ELN6hipcub20BlockReduceAlgorithmE0EfEvPT2_S3_,comdat
	.protected	_Z19reduce_array_kernelILj1024ELj1ELN6hipcub20BlockReduceAlgorithmE0EfEvPT2_S3_ ; -- Begin function _Z19reduce_array_kernelILj1024ELj1ELN6hipcub20BlockReduceAlgorithmE0EfEvPT2_S3_
	.globl	_Z19reduce_array_kernelILj1024ELj1ELN6hipcub20BlockReduceAlgorithmE0EfEvPT2_S3_
	.p2align	8
	.type	_Z19reduce_array_kernelILj1024ELj1ELN6hipcub20BlockReduceAlgorithmE0EfEvPT2_S3_,@function
_Z19reduce_array_kernelILj1024ELj1ELN6hipcub20BlockReduceAlgorithmE0EfEvPT2_S3_: ; @_Z19reduce_array_kernelILj1024ELj1ELN6hipcub20BlockReduceAlgorithmE0EfEvPT2_S3_
; %bb.0:
	s_load_dwordx4 s[0:3], s[4:5], 0x0
	v_lshl_or_b32 v2, s6, 10, v0
	v_mov_b32_e32 v3, 0
	v_lshlrev_b64 v[2:3], 2, v[2:3]
	s_waitcnt lgkmcnt(0)
	v_mov_b32_e32 v1, s1
	v_add_co_u32_e32 v2, vcc, s0, v2
	v_addc_co_u32_e32 v3, vcc, v1, v3, vcc
	global_load_dword v2, v[2:3], off
	v_mbcnt_lo_u32_b32 v1, -1, 0
	v_bfrev_b32_e32 v3, 0.5
	v_mbcnt_hi_u32_b32 v1, -1, v1
	v_lshl_or_b32 v3, v1, 2, v3
	v_cmp_eq_u32_e32 vcc, 0, v1
	s_waitcnt vmcnt(0)
	v_mov_b32_dpp v4, v2 quad_perm:[1,0,3,2] row_mask:0xf bank_mask:0xf
	v_add_f32_e32 v2, v2, v4
	s_nop 1
	v_mov_b32_dpp v4, v2 quad_perm:[2,3,0,1] row_mask:0xf bank_mask:0xf
	v_add_f32_e32 v2, v2, v4
	s_nop 1
	v_mov_b32_dpp v4, v2 row_ror:4 row_mask:0xf bank_mask:0xf
	v_add_f32_e32 v2, v2, v4
	s_nop 1
	v_mov_b32_dpp v4, v2 row_ror:8 row_mask:0xf bank_mask:0xf
	v_add_f32_e32 v2, v2, v4
	s_nop 1
	v_mov_b32_dpp v4, v2 row_bcast:15 row_mask:0xf bank_mask:0xf
	v_add_f32_e32 v2, v2, v4
	s_nop 1
	v_mov_b32_dpp v4, v2 row_bcast:31 row_mask:0xf bank_mask:0xf
	v_add_f32_e32 v2, v2, v4
	ds_bpermute_b32 v2, v3, v2
	s_and_saveexec_b64 s[0:1], vcc
	s_cbranch_execz .LBB99_2
; %bb.1:
	v_lshrrev_b32_e32 v3, 4, v0
	v_and_b32_e32 v3, 60, v3
	s_waitcnt lgkmcnt(0)
	ds_write_b32 v3, v2
.LBB99_2:
	s_or_b64 exec, exec, s[0:1]
	v_cmp_gt_u32_e32 vcc, 64, v0
	s_waitcnt lgkmcnt(0)
	s_barrier
	s_and_saveexec_b64 s[0:1], vcc
	s_cbranch_execz .LBB99_4
; %bb.3:
	v_and_b32_e32 v2, 15, v1
	v_lshlrev_b32_e32 v3, 2, v2
	ds_read_b32 v3, v3
	v_cmp_ne_u32_e32 vcc, 15, v2
	v_addc_co_u32_e32 v4, vcc, 0, v1, vcc
	v_lshlrev_b32_e32 v4, 2, v4
	s_waitcnt lgkmcnt(0)
	ds_bpermute_b32 v4, v4, v3
	v_cmp_gt_u32_e32 vcc, 14, v2
	v_cndmask_b32_e64 v5, 0, 1, vcc
	v_lshlrev_b32_e32 v5, 1, v5
	v_add_lshl_u32 v5, v5, v1, 2
	s_waitcnt lgkmcnt(0)
	v_add_f32_e32 v3, v3, v4
	ds_bpermute_b32 v4, v5, v3
	v_cmp_gt_u32_e32 vcc, 12, v2
	v_cndmask_b32_e64 v5, 0, 1, vcc
	v_lshlrev_b32_e32 v5, 2, v5
	v_add_lshl_u32 v5, v5, v1, 2
	s_waitcnt lgkmcnt(0)
	v_add_f32_e32 v3, v3, v4
	;; [unrolled: 7-line block ×3, first 2 shown]
	ds_bpermute_b32 v1, v1, v3
	s_waitcnt lgkmcnt(0)
	v_add_f32_e32 v2, v3, v1
.LBB99_4:
	s_or_b64 exec, exec, s[0:1]
	s_mov_b32 s7, 0
	v_cmp_eq_u32_e32 vcc, 0, v0
	s_and_saveexec_b64 s[0:1], vcc
	s_cbranch_execz .LBB99_6
; %bb.5:
	s_lshl_b64 s[0:1], s[6:7], 2
	s_add_u32 s0, s2, s0
	s_addc_u32 s1, s3, s1
	v_mov_b32_e32 v0, 0
	global_store_dword v0, v2, s[0:1]
.LBB99_6:
	s_endpgm
	.section	.rodata,"a",@progbits
	.p2align	6, 0x0
	.amdhsa_kernel _Z19reduce_array_kernelILj1024ELj1ELN6hipcub20BlockReduceAlgorithmE0EfEvPT2_S3_
		.amdhsa_group_segment_fixed_size 64
		.amdhsa_private_segment_fixed_size 0
		.amdhsa_kernarg_size 16
		.amdhsa_user_sgpr_count 6
		.amdhsa_user_sgpr_private_segment_buffer 1
		.amdhsa_user_sgpr_dispatch_ptr 0
		.amdhsa_user_sgpr_queue_ptr 0
		.amdhsa_user_sgpr_kernarg_segment_ptr 1
		.amdhsa_user_sgpr_dispatch_id 0
		.amdhsa_user_sgpr_flat_scratch_init 0
		.amdhsa_user_sgpr_kernarg_preload_length 0
		.amdhsa_user_sgpr_kernarg_preload_offset 0
		.amdhsa_user_sgpr_private_segment_size 0
		.amdhsa_uses_dynamic_stack 0
		.amdhsa_system_sgpr_private_segment_wavefront_offset 0
		.amdhsa_system_sgpr_workgroup_id_x 1
		.amdhsa_system_sgpr_workgroup_id_y 0
		.amdhsa_system_sgpr_workgroup_id_z 0
		.amdhsa_system_sgpr_workgroup_info 0
		.amdhsa_system_vgpr_workitem_id 0
		.amdhsa_next_free_vgpr 6
		.amdhsa_next_free_sgpr 8
		.amdhsa_accum_offset 8
		.amdhsa_reserve_vcc 1
		.amdhsa_reserve_flat_scratch 0
		.amdhsa_float_round_mode_32 0
		.amdhsa_float_round_mode_16_64 0
		.amdhsa_float_denorm_mode_32 3
		.amdhsa_float_denorm_mode_16_64 3
		.amdhsa_dx10_clamp 1
		.amdhsa_ieee_mode 1
		.amdhsa_fp16_overflow 0
		.amdhsa_tg_split 0
		.amdhsa_exception_fp_ieee_invalid_op 0
		.amdhsa_exception_fp_denorm_src 0
		.amdhsa_exception_fp_ieee_div_zero 0
		.amdhsa_exception_fp_ieee_overflow 0
		.amdhsa_exception_fp_ieee_underflow 0
		.amdhsa_exception_fp_ieee_inexact 0
		.amdhsa_exception_int_div_zero 0
	.end_amdhsa_kernel
	.section	.text._Z19reduce_array_kernelILj1024ELj1ELN6hipcub20BlockReduceAlgorithmE0EfEvPT2_S3_,"axG",@progbits,_Z19reduce_array_kernelILj1024ELj1ELN6hipcub20BlockReduceAlgorithmE0EfEvPT2_S3_,comdat
.Lfunc_end99:
	.size	_Z19reduce_array_kernelILj1024ELj1ELN6hipcub20BlockReduceAlgorithmE0EfEvPT2_S3_, .Lfunc_end99-_Z19reduce_array_kernelILj1024ELj1ELN6hipcub20BlockReduceAlgorithmE0EfEvPT2_S3_
                                        ; -- End function
	.section	.AMDGPU.csdata,"",@progbits
; Kernel info:
; codeLenInByte = 456
; NumSgprs: 12
; NumVgprs: 6
; NumAgprs: 0
; TotalNumVgprs: 6
; ScratchSize: 0
; MemoryBound: 0
; FloatMode: 240
; IeeeMode: 1
; LDSByteSize: 64 bytes/workgroup (compile time only)
; SGPRBlocks: 1
; VGPRBlocks: 0
; NumSGPRsForWavesPerEU: 12
; NumVGPRsForWavesPerEU: 6
; AccumOffset: 8
; Occupancy: 8
; WaveLimiterHint : 0
; COMPUTE_PGM_RSRC2:SCRATCH_EN: 0
; COMPUTE_PGM_RSRC2:USER_SGPR: 6
; COMPUTE_PGM_RSRC2:TRAP_HANDLER: 0
; COMPUTE_PGM_RSRC2:TGID_X_EN: 1
; COMPUTE_PGM_RSRC2:TGID_Y_EN: 0
; COMPUTE_PGM_RSRC2:TGID_Z_EN: 0
; COMPUTE_PGM_RSRC2:TIDIG_COMP_CNT: 0
; COMPUTE_PGM_RSRC3_GFX90A:ACCUM_OFFSET: 1
; COMPUTE_PGM_RSRC3_GFX90A:TG_SPLIT: 0
	.section	.text._Z19reduce_array_kernelILj512ELj4ELN6hipcub20BlockReduceAlgorithmE0EiEvPT2_S3_,"axG",@progbits,_Z19reduce_array_kernelILj512ELj4ELN6hipcub20BlockReduceAlgorithmE0EiEvPT2_S3_,comdat
	.protected	_Z19reduce_array_kernelILj512ELj4ELN6hipcub20BlockReduceAlgorithmE0EiEvPT2_S3_ ; -- Begin function _Z19reduce_array_kernelILj512ELj4ELN6hipcub20BlockReduceAlgorithmE0EiEvPT2_S3_
	.globl	_Z19reduce_array_kernelILj512ELj4ELN6hipcub20BlockReduceAlgorithmE0EiEvPT2_S3_
	.p2align	8
	.type	_Z19reduce_array_kernelILj512ELj4ELN6hipcub20BlockReduceAlgorithmE0EiEvPT2_S3_,@function
_Z19reduce_array_kernelILj512ELj4ELN6hipcub20BlockReduceAlgorithmE0EiEvPT2_S3_: ; @_Z19reduce_array_kernelILj512ELj4ELN6hipcub20BlockReduceAlgorithmE0EiEvPT2_S3_
; %bb.0:
	s_load_dwordx4 s[0:3], s[4:5], 0x0
	v_lshlrev_b32_e32 v1, 2, v0
	v_lshl_or_b32 v2, s6, 11, v1
	v_mov_b32_e32 v3, 0
	v_lshlrev_b64 v[2:3], 2, v[2:3]
	s_waitcnt lgkmcnt(0)
	v_mov_b32_e32 v1, s1
	v_add_co_u32_e32 v2, vcc, s0, v2
	v_addc_co_u32_e32 v3, vcc, v1, v3, vcc
	global_load_dwordx4 v[2:5], v[2:3], off
	v_mbcnt_lo_u32_b32 v1, -1, 0
	v_bfrev_b32_e32 v6, 0.5
	v_mbcnt_hi_u32_b32 v1, -1, v1
	v_cmp_eq_u32_e32 vcc, 0, v1
	s_waitcnt vmcnt(0)
	v_add_u32_e32 v2, v3, v2
	v_add3_u32 v2, v2, v4, v5
	s_nop 1
	v_mov_b32_dpp v3, v2 quad_perm:[1,0,3,2] row_mask:0xf bank_mask:0xf
	v_add_u32_e32 v2, v3, v2
	s_nop 1
	v_mov_b32_dpp v3, v2 quad_perm:[2,3,0,1] row_mask:0xf bank_mask:0xf
	v_add_u32_e32 v2, v2, v3
	s_nop 1
	v_mov_b32_dpp v3, v2 row_ror:4 row_mask:0xf bank_mask:0xf
	v_add_u32_e32 v2, v2, v3
	s_nop 1
	v_mov_b32_dpp v3, v2 row_ror:8 row_mask:0xf bank_mask:0xf
	v_add_u32_e32 v2, v2, v3
	s_nop 1
	v_mov_b32_dpp v3, v2 row_bcast:15 row_mask:0xf bank_mask:0xf
	v_add_u32_e32 v2, v2, v3
	s_nop 1
	v_mov_b32_dpp v3, v2 row_bcast:31 row_mask:0xf bank_mask:0xf
	v_add_u32_e32 v2, v2, v3
	v_lshl_or_b32 v3, v1, 2, v6
	ds_bpermute_b32 v2, v3, v2
	s_and_saveexec_b64 s[0:1], vcc
	s_cbranch_execz .LBB100_2
; %bb.1:
	v_lshrrev_b32_e32 v3, 4, v0
	v_and_b32_e32 v3, 28, v3
	s_waitcnt lgkmcnt(0)
	ds_write_b32 v3, v2
.LBB100_2:
	s_or_b64 exec, exec, s[0:1]
	v_cmp_gt_u32_e32 vcc, 64, v0
	s_waitcnt lgkmcnt(0)
	s_barrier
	s_and_saveexec_b64 s[0:1], vcc
	s_cbranch_execz .LBB100_4
; %bb.3:
	v_and_b32_e32 v2, 7, v1
	v_lshlrev_b32_e32 v3, 2, v2
	ds_read_b32 v3, v3
	v_cmp_ne_u32_e32 vcc, 7, v2
	v_addc_co_u32_e32 v4, vcc, 0, v1, vcc
	v_lshlrev_b32_e32 v4, 2, v4
	s_waitcnt lgkmcnt(0)
	ds_bpermute_b32 v4, v4, v3
	v_cmp_gt_u32_e32 vcc, 6, v2
	v_cndmask_b32_e64 v5, 0, 1, vcc
	v_lshlrev_b32_e32 v5, 1, v5
	v_add_lshl_u32 v5, v5, v1, 2
	s_waitcnt lgkmcnt(0)
	v_add_u32_e32 v3, v4, v3
	ds_bpermute_b32 v4, v5, v3
	v_cmp_gt_u32_e32 vcc, 4, v2
	v_cndmask_b32_e64 v2, 0, 1, vcc
	v_lshlrev_b32_e32 v2, 2, v2
	v_add_lshl_u32 v1, v2, v1, 2
	s_waitcnt lgkmcnt(0)
	v_add_u32_e32 v3, v4, v3
	ds_bpermute_b32 v1, v1, v3
	s_waitcnt lgkmcnt(0)
	v_add_u32_e32 v2, v1, v3
.LBB100_4:
	s_or_b64 exec, exec, s[0:1]
	s_mov_b32 s7, 0
	v_cmp_eq_u32_e32 vcc, 0, v0
	s_and_saveexec_b64 s[0:1], vcc
	s_cbranch_execz .LBB100_6
; %bb.5:
	s_lshl_b64 s[0:1], s[6:7], 2
	s_add_u32 s0, s2, s0
	s_addc_u32 s1, s3, s1
	v_mov_b32_e32 v0, 0
	global_store_dword v0, v2, s[0:1]
.LBB100_6:
	s_endpgm
	.section	.rodata,"a",@progbits
	.p2align	6, 0x0
	.amdhsa_kernel _Z19reduce_array_kernelILj512ELj4ELN6hipcub20BlockReduceAlgorithmE0EiEvPT2_S3_
		.amdhsa_group_segment_fixed_size 32
		.amdhsa_private_segment_fixed_size 0
		.amdhsa_kernarg_size 16
		.amdhsa_user_sgpr_count 6
		.amdhsa_user_sgpr_private_segment_buffer 1
		.amdhsa_user_sgpr_dispatch_ptr 0
		.amdhsa_user_sgpr_queue_ptr 0
		.amdhsa_user_sgpr_kernarg_segment_ptr 1
		.amdhsa_user_sgpr_dispatch_id 0
		.amdhsa_user_sgpr_flat_scratch_init 0
		.amdhsa_user_sgpr_kernarg_preload_length 0
		.amdhsa_user_sgpr_kernarg_preload_offset 0
		.amdhsa_user_sgpr_private_segment_size 0
		.amdhsa_uses_dynamic_stack 0
		.amdhsa_system_sgpr_private_segment_wavefront_offset 0
		.amdhsa_system_sgpr_workgroup_id_x 1
		.amdhsa_system_sgpr_workgroup_id_y 0
		.amdhsa_system_sgpr_workgroup_id_z 0
		.amdhsa_system_sgpr_workgroup_info 0
		.amdhsa_system_vgpr_workitem_id 0
		.amdhsa_next_free_vgpr 7
		.amdhsa_next_free_sgpr 8
		.amdhsa_accum_offset 8
		.amdhsa_reserve_vcc 1
		.amdhsa_reserve_flat_scratch 0
		.amdhsa_float_round_mode_32 0
		.amdhsa_float_round_mode_16_64 0
		.amdhsa_float_denorm_mode_32 3
		.amdhsa_float_denorm_mode_16_64 3
		.amdhsa_dx10_clamp 1
		.amdhsa_ieee_mode 1
		.amdhsa_fp16_overflow 0
		.amdhsa_tg_split 0
		.amdhsa_exception_fp_ieee_invalid_op 0
		.amdhsa_exception_fp_denorm_src 0
		.amdhsa_exception_fp_ieee_div_zero 0
		.amdhsa_exception_fp_ieee_overflow 0
		.amdhsa_exception_fp_ieee_underflow 0
		.amdhsa_exception_fp_ieee_inexact 0
		.amdhsa_exception_int_div_zero 0
	.end_amdhsa_kernel
	.section	.text._Z19reduce_array_kernelILj512ELj4ELN6hipcub20BlockReduceAlgorithmE0EiEvPT2_S3_,"axG",@progbits,_Z19reduce_array_kernelILj512ELj4ELN6hipcub20BlockReduceAlgorithmE0EiEvPT2_S3_,comdat
.Lfunc_end100:
	.size	_Z19reduce_array_kernelILj512ELj4ELN6hipcub20BlockReduceAlgorithmE0EiEvPT2_S3_, .Lfunc_end100-_Z19reduce_array_kernelILj512ELj4ELN6hipcub20BlockReduceAlgorithmE0EiEvPT2_S3_
                                        ; -- End function
	.section	.AMDGPU.csdata,"",@progbits
; Kernel info:
; codeLenInByte = 436
; NumSgprs: 12
; NumVgprs: 7
; NumAgprs: 0
; TotalNumVgprs: 7
; ScratchSize: 0
; MemoryBound: 0
; FloatMode: 240
; IeeeMode: 1
; LDSByteSize: 32 bytes/workgroup (compile time only)
; SGPRBlocks: 1
; VGPRBlocks: 0
; NumSGPRsForWavesPerEU: 12
; NumVGPRsForWavesPerEU: 7
; AccumOffset: 8
; Occupancy: 8
; WaveLimiterHint : 0
; COMPUTE_PGM_RSRC2:SCRATCH_EN: 0
; COMPUTE_PGM_RSRC2:USER_SGPR: 6
; COMPUTE_PGM_RSRC2:TRAP_HANDLER: 0
; COMPUTE_PGM_RSRC2:TGID_X_EN: 1
; COMPUTE_PGM_RSRC2:TGID_Y_EN: 0
; COMPUTE_PGM_RSRC2:TGID_Z_EN: 0
; COMPUTE_PGM_RSRC2:TIDIG_COMP_CNT: 0
; COMPUTE_PGM_RSRC3_GFX90A:ACCUM_OFFSET: 1
; COMPUTE_PGM_RSRC3_GFX90A:TG_SPLIT: 0
	.section	.text._Z19reduce_array_kernelILj256ELj3ELN6hipcub20BlockReduceAlgorithmE0EjEvPT2_S3_,"axG",@progbits,_Z19reduce_array_kernelILj256ELj3ELN6hipcub20BlockReduceAlgorithmE0EjEvPT2_S3_,comdat
	.protected	_Z19reduce_array_kernelILj256ELj3ELN6hipcub20BlockReduceAlgorithmE0EjEvPT2_S3_ ; -- Begin function _Z19reduce_array_kernelILj256ELj3ELN6hipcub20BlockReduceAlgorithmE0EjEvPT2_S3_
	.globl	_Z19reduce_array_kernelILj256ELj3ELN6hipcub20BlockReduceAlgorithmE0EjEvPT2_S3_
	.p2align	8
	.type	_Z19reduce_array_kernelILj256ELj3ELN6hipcub20BlockReduceAlgorithmE0EjEvPT2_S3_,@function
_Z19reduce_array_kernelILj256ELj3ELN6hipcub20BlockReduceAlgorithmE0EjEvPT2_S3_: ; @_Z19reduce_array_kernelILj256ELj3ELN6hipcub20BlockReduceAlgorithmE0EjEvPT2_S3_
; %bb.0:
	s_load_dwordx4 s[0:3], s[4:5], 0x0
	v_lshl_or_b32 v1, s6, 8, v0
	v_lshl_add_u32 v2, v1, 1, v1
	v_mov_b32_e32 v3, 0
	v_lshlrev_b64 v[4:5], 2, v[2:3]
	s_waitcnt lgkmcnt(0)
	v_mov_b32_e32 v1, s1
	v_add_co_u32_e32 v4, vcc, s0, v4
	v_add_u32_e32 v6, 1, v2
	v_mov_b32_e32 v7, v3
	v_addc_co_u32_e32 v5, vcc, v1, v5, vcc
	v_lshlrev_b64 v[6:7], 2, v[6:7]
	v_add_co_u32_e32 v6, vcc, s0, v6
	v_add_u32_e32 v2, 2, v2
	v_addc_co_u32_e32 v7, vcc, v1, v7, vcc
	v_lshlrev_b64 v[2:3], 2, v[2:3]
	v_add_co_u32_e32 v2, vcc, s0, v2
	v_addc_co_u32_e32 v3, vcc, v1, v3, vcc
	global_load_dword v8, v[4:5], off
	global_load_dword v9, v[6:7], off
	;; [unrolled: 1-line block ×3, first 2 shown]
	v_mbcnt_lo_u32_b32 v1, -1, 0
	v_bfrev_b32_e32 v2, 0.5
	v_mbcnt_hi_u32_b32 v1, -1, v1
	v_lshl_or_b32 v2, v1, 2, v2
	v_cmp_eq_u32_e32 vcc, 0, v1
	s_waitcnt vmcnt(0)
	v_add3_u32 v3, v9, v8, v10
	s_nop 1
	v_mov_b32_dpp v4, v3 quad_perm:[1,0,3,2] row_mask:0xf bank_mask:0xf
	v_add_u32_e32 v3, v4, v3
	s_nop 1
	v_mov_b32_dpp v4, v3 quad_perm:[2,3,0,1] row_mask:0xf bank_mask:0xf
	v_add_u32_e32 v3, v3, v4
	s_nop 1
	v_mov_b32_dpp v4, v3 row_ror:4 row_mask:0xf bank_mask:0xf
	v_add_u32_e32 v3, v3, v4
	s_nop 1
	v_mov_b32_dpp v4, v3 row_ror:8 row_mask:0xf bank_mask:0xf
	v_add_u32_e32 v3, v3, v4
	s_nop 1
	v_mov_b32_dpp v4, v3 row_bcast:15 row_mask:0xf bank_mask:0xf
	v_add_u32_e32 v3, v3, v4
	s_nop 1
	v_mov_b32_dpp v4, v3 row_bcast:31 row_mask:0xf bank_mask:0xf
	v_add_u32_e32 v3, v3, v4
	ds_bpermute_b32 v2, v2, v3
	s_and_saveexec_b64 s[0:1], vcc
	s_cbranch_execz .LBB101_2
; %bb.1:
	v_lshrrev_b32_e32 v3, 4, v0
	v_and_b32_e32 v3, 12, v3
	s_waitcnt lgkmcnt(0)
	ds_write_b32 v3, v2
.LBB101_2:
	s_or_b64 exec, exec, s[0:1]
	v_cmp_gt_u32_e32 vcc, 64, v0
	s_waitcnt lgkmcnt(0)
	s_barrier
	s_and_saveexec_b64 s[0:1], vcc
	s_cbranch_execz .LBB101_4
; %bb.3:
	v_and_b32_e32 v2, 3, v1
	v_lshlrev_b32_e32 v3, 2, v2
	ds_read_b32 v3, v3
	v_cmp_ne_u32_e32 vcc, 3, v2
	v_addc_co_u32_e32 v4, vcc, 0, v1, vcc
	v_lshlrev_b32_e32 v4, 2, v4
	s_waitcnt lgkmcnt(0)
	ds_bpermute_b32 v4, v4, v3
	v_cmp_gt_u32_e32 vcc, 2, v2
	v_cndmask_b32_e64 v2, 0, 1, vcc
	v_lshlrev_b32_e32 v2, 1, v2
	v_add_lshl_u32 v1, v2, v1, 2
	s_waitcnt lgkmcnt(0)
	v_add_u32_e32 v3, v4, v3
	ds_bpermute_b32 v1, v1, v3
	s_waitcnt lgkmcnt(0)
	v_add_u32_e32 v2, v1, v3
.LBB101_4:
	s_or_b64 exec, exec, s[0:1]
	s_mov_b32 s7, 0
	v_cmp_eq_u32_e32 vcc, 0, v0
	s_and_saveexec_b64 s[0:1], vcc
	s_cbranch_execz .LBB101_6
; %bb.5:
	s_lshl_b64 s[0:1], s[6:7], 2
	s_add_u32 s0, s2, s0
	s_addc_u32 s1, s3, s1
	v_mov_b32_e32 v0, 0
	global_store_dword v0, v2, s[0:1]
.LBB101_6:
	s_endpgm
	.section	.rodata,"a",@progbits
	.p2align	6, 0x0
	.amdhsa_kernel _Z19reduce_array_kernelILj256ELj3ELN6hipcub20BlockReduceAlgorithmE0EjEvPT2_S3_
		.amdhsa_group_segment_fixed_size 16
		.amdhsa_private_segment_fixed_size 0
		.amdhsa_kernarg_size 16
		.amdhsa_user_sgpr_count 6
		.amdhsa_user_sgpr_private_segment_buffer 1
		.amdhsa_user_sgpr_dispatch_ptr 0
		.amdhsa_user_sgpr_queue_ptr 0
		.amdhsa_user_sgpr_kernarg_segment_ptr 1
		.amdhsa_user_sgpr_dispatch_id 0
		.amdhsa_user_sgpr_flat_scratch_init 0
		.amdhsa_user_sgpr_kernarg_preload_length 0
		.amdhsa_user_sgpr_kernarg_preload_offset 0
		.amdhsa_user_sgpr_private_segment_size 0
		.amdhsa_uses_dynamic_stack 0
		.amdhsa_system_sgpr_private_segment_wavefront_offset 0
		.amdhsa_system_sgpr_workgroup_id_x 1
		.amdhsa_system_sgpr_workgroup_id_y 0
		.amdhsa_system_sgpr_workgroup_id_z 0
		.amdhsa_system_sgpr_workgroup_info 0
		.amdhsa_system_vgpr_workitem_id 0
		.amdhsa_next_free_vgpr 11
		.amdhsa_next_free_sgpr 8
		.amdhsa_accum_offset 12
		.amdhsa_reserve_vcc 1
		.amdhsa_reserve_flat_scratch 0
		.amdhsa_float_round_mode_32 0
		.amdhsa_float_round_mode_16_64 0
		.amdhsa_float_denorm_mode_32 3
		.amdhsa_float_denorm_mode_16_64 3
		.amdhsa_dx10_clamp 1
		.amdhsa_ieee_mode 1
		.amdhsa_fp16_overflow 0
		.amdhsa_tg_split 0
		.amdhsa_exception_fp_ieee_invalid_op 0
		.amdhsa_exception_fp_denorm_src 0
		.amdhsa_exception_fp_ieee_div_zero 0
		.amdhsa_exception_fp_ieee_overflow 0
		.amdhsa_exception_fp_ieee_underflow 0
		.amdhsa_exception_fp_ieee_inexact 0
		.amdhsa_exception_int_div_zero 0
	.end_amdhsa_kernel
	.section	.text._Z19reduce_array_kernelILj256ELj3ELN6hipcub20BlockReduceAlgorithmE0EjEvPT2_S3_,"axG",@progbits,_Z19reduce_array_kernelILj256ELj3ELN6hipcub20BlockReduceAlgorithmE0EjEvPT2_S3_,comdat
.Lfunc_end101:
	.size	_Z19reduce_array_kernelILj256ELj3ELN6hipcub20BlockReduceAlgorithmE0EjEvPT2_S3_, .Lfunc_end101-_Z19reduce_array_kernelILj256ELj3ELN6hipcub20BlockReduceAlgorithmE0EjEvPT2_S3_
                                        ; -- End function
	.section	.AMDGPU.csdata,"",@progbits
; Kernel info:
; codeLenInByte = 456
; NumSgprs: 12
; NumVgprs: 11
; NumAgprs: 0
; TotalNumVgprs: 11
; ScratchSize: 0
; MemoryBound: 0
; FloatMode: 240
; IeeeMode: 1
; LDSByteSize: 16 bytes/workgroup (compile time only)
; SGPRBlocks: 1
; VGPRBlocks: 1
; NumSGPRsForWavesPerEU: 12
; NumVGPRsForWavesPerEU: 11
; AccumOffset: 12
; Occupancy: 8
; WaveLimiterHint : 0
; COMPUTE_PGM_RSRC2:SCRATCH_EN: 0
; COMPUTE_PGM_RSRC2:USER_SGPR: 6
; COMPUTE_PGM_RSRC2:TRAP_HANDLER: 0
; COMPUTE_PGM_RSRC2:TGID_X_EN: 1
; COMPUTE_PGM_RSRC2:TGID_Y_EN: 0
; COMPUTE_PGM_RSRC2:TGID_Z_EN: 0
; COMPUTE_PGM_RSRC2:TIDIG_COMP_CNT: 0
; COMPUTE_PGM_RSRC3_GFX90A:ACCUM_OFFSET: 2
; COMPUTE_PGM_RSRC3_GFX90A:TG_SPLIT: 0
	.section	.text._Z19reduce_array_kernelILj32ELj2ELN6hipcub20BlockReduceAlgorithmE0EfEvPT2_S3_,"axG",@progbits,_Z19reduce_array_kernelILj32ELj2ELN6hipcub20BlockReduceAlgorithmE0EfEvPT2_S3_,comdat
	.protected	_Z19reduce_array_kernelILj32ELj2ELN6hipcub20BlockReduceAlgorithmE0EfEvPT2_S3_ ; -- Begin function _Z19reduce_array_kernelILj32ELj2ELN6hipcub20BlockReduceAlgorithmE0EfEvPT2_S3_
	.globl	_Z19reduce_array_kernelILj32ELj2ELN6hipcub20BlockReduceAlgorithmE0EfEvPT2_S3_
	.p2align	8
	.type	_Z19reduce_array_kernelILj32ELj2ELN6hipcub20BlockReduceAlgorithmE0EfEvPT2_S3_,@function
_Z19reduce_array_kernelILj32ELj2ELN6hipcub20BlockReduceAlgorithmE0EfEvPT2_S3_: ; @_Z19reduce_array_kernelILj32ELj2ELN6hipcub20BlockReduceAlgorithmE0EfEvPT2_S3_
; %bb.0:
	s_load_dwordx4 s[0:3], s[4:5], 0x0
	v_lshlrev_b32_e32 v1, 1, v0
	v_lshl_or_b32 v2, s6, 6, v1
	v_mov_b32_e32 v3, 0
	v_lshlrev_b64 v[4:5], 2, v[2:3]
	s_waitcnt lgkmcnt(0)
	v_mov_b32_e32 v1, s1
	v_add_co_u32_e32 v4, vcc, s0, v4
	v_addc_co_u32_e32 v5, vcc, v1, v5, vcc
	global_load_dwordx2 v[4:5], v[4:5], off
	v_mbcnt_lo_u32_b32 v1, -1, 0
	v_mbcnt_hi_u32_b32 v2, -1, v1
	v_and_b32_e32 v1, 31, v2
	v_cmp_ne_u32_e32 vcc, 31, v1
	v_addc_co_u32_e32 v6, vcc, 0, v2, vcc
	v_lshlrev_b32_e32 v6, 2, v6
	v_cmp_gt_u32_e32 vcc, 30, v1
	s_mov_b32 s7, 0
	s_waitcnt vmcnt(0)
	v_add_f32_e32 v4, v4, v5
	ds_bpermute_b32 v5, v6, v4
	v_cndmask_b32_e64 v6, 0, 1, vcc
	v_lshlrev_b32_e32 v6, 1, v6
	v_add_lshl_u32 v6, v6, v2, 2
	v_cmp_gt_u32_e32 vcc, 28, v1
	s_waitcnt lgkmcnt(0)
	v_add_f32_e32 v4, v4, v5
	ds_bpermute_b32 v5, v6, v4
	v_cndmask_b32_e64 v6, 0, 1, vcc
	v_lshlrev_b32_e32 v6, 2, v6
	v_add_lshl_u32 v6, v6, v2, 2
	v_cmp_gt_u32_e32 vcc, 24, v1
	s_waitcnt lgkmcnt(0)
	;; [unrolled: 7-line block ×3, first 2 shown]
	v_add_f32_e32 v4, v4, v5
	ds_bpermute_b32 v5, v6, v4
	v_cndmask_b32_e64 v1, 0, 1, vcc
	v_lshlrev_b32_e32 v6, 4, v1
	v_add_lshl_u32 v2, v6, v2, 2
	v_cmp_eq_u32_e32 vcc, 0, v0
	s_waitcnt lgkmcnt(0)
	v_add_f32_e32 v1, v4, v5
	ds_bpermute_b32 v2, v2, v1
	s_and_saveexec_b64 s[0:1], vcc
	s_cbranch_execz .LBB102_2
; %bb.1:
	s_lshl_b64 s[0:1], s[6:7], 2
	s_add_u32 s0, s2, s0
	s_addc_u32 s1, s3, s1
	s_waitcnt lgkmcnt(0)
	v_add_f32_e32 v0, v1, v2
	global_store_dword v3, v0, s[0:1]
.LBB102_2:
	s_endpgm
	.section	.rodata,"a",@progbits
	.p2align	6, 0x0
	.amdhsa_kernel _Z19reduce_array_kernelILj32ELj2ELN6hipcub20BlockReduceAlgorithmE0EfEvPT2_S3_
		.amdhsa_group_segment_fixed_size 0
		.amdhsa_private_segment_fixed_size 0
		.amdhsa_kernarg_size 16
		.amdhsa_user_sgpr_count 6
		.amdhsa_user_sgpr_private_segment_buffer 1
		.amdhsa_user_sgpr_dispatch_ptr 0
		.amdhsa_user_sgpr_queue_ptr 0
		.amdhsa_user_sgpr_kernarg_segment_ptr 1
		.amdhsa_user_sgpr_dispatch_id 0
		.amdhsa_user_sgpr_flat_scratch_init 0
		.amdhsa_user_sgpr_kernarg_preload_length 0
		.amdhsa_user_sgpr_kernarg_preload_offset 0
		.amdhsa_user_sgpr_private_segment_size 0
		.amdhsa_uses_dynamic_stack 0
		.amdhsa_system_sgpr_private_segment_wavefront_offset 0
		.amdhsa_system_sgpr_workgroup_id_x 1
		.amdhsa_system_sgpr_workgroup_id_y 0
		.amdhsa_system_sgpr_workgroup_id_z 0
		.amdhsa_system_sgpr_workgroup_info 0
		.amdhsa_system_vgpr_workitem_id 0
		.amdhsa_next_free_vgpr 7
		.amdhsa_next_free_sgpr 8
		.amdhsa_accum_offset 8
		.amdhsa_reserve_vcc 1
		.amdhsa_reserve_flat_scratch 0
		.amdhsa_float_round_mode_32 0
		.amdhsa_float_round_mode_16_64 0
		.amdhsa_float_denorm_mode_32 3
		.amdhsa_float_denorm_mode_16_64 3
		.amdhsa_dx10_clamp 1
		.amdhsa_ieee_mode 1
		.amdhsa_fp16_overflow 0
		.amdhsa_tg_split 0
		.amdhsa_exception_fp_ieee_invalid_op 0
		.amdhsa_exception_fp_denorm_src 0
		.amdhsa_exception_fp_ieee_div_zero 0
		.amdhsa_exception_fp_ieee_overflow 0
		.amdhsa_exception_fp_ieee_underflow 0
		.amdhsa_exception_fp_ieee_inexact 0
		.amdhsa_exception_int_div_zero 0
	.end_amdhsa_kernel
	.section	.text._Z19reduce_array_kernelILj32ELj2ELN6hipcub20BlockReduceAlgorithmE0EfEvPT2_S3_,"axG",@progbits,_Z19reduce_array_kernelILj32ELj2ELN6hipcub20BlockReduceAlgorithmE0EfEvPT2_S3_,comdat
.Lfunc_end102:
	.size	_Z19reduce_array_kernelILj32ELj2ELN6hipcub20BlockReduceAlgorithmE0EfEvPT2_S3_, .Lfunc_end102-_Z19reduce_array_kernelILj32ELj2ELN6hipcub20BlockReduceAlgorithmE0EfEvPT2_S3_
                                        ; -- End function
	.section	.AMDGPU.csdata,"",@progbits
; Kernel info:
; codeLenInByte = 312
; NumSgprs: 12
; NumVgprs: 7
; NumAgprs: 0
; TotalNumVgprs: 7
; ScratchSize: 0
; MemoryBound: 0
; FloatMode: 240
; IeeeMode: 1
; LDSByteSize: 0 bytes/workgroup (compile time only)
; SGPRBlocks: 1
; VGPRBlocks: 0
; NumSGPRsForWavesPerEU: 12
; NumVGPRsForWavesPerEU: 7
; AccumOffset: 8
; Occupancy: 8
; WaveLimiterHint : 0
; COMPUTE_PGM_RSRC2:SCRATCH_EN: 0
; COMPUTE_PGM_RSRC2:USER_SGPR: 6
; COMPUTE_PGM_RSRC2:TRAP_HANDLER: 0
; COMPUTE_PGM_RSRC2:TGID_X_EN: 1
; COMPUTE_PGM_RSRC2:TGID_Y_EN: 0
; COMPUTE_PGM_RSRC2:TGID_Z_EN: 0
; COMPUTE_PGM_RSRC2:TIDIG_COMP_CNT: 0
; COMPUTE_PGM_RSRC3_GFX90A:ACCUM_OFFSET: 1
; COMPUTE_PGM_RSRC3_GFX90A:TG_SPLIT: 0
	.section	.text._Z19reduce_array_kernelILj6ELj32ELN6hipcub20BlockReduceAlgorithmE0EfEvPT2_S3_,"axG",@progbits,_Z19reduce_array_kernelILj6ELj32ELN6hipcub20BlockReduceAlgorithmE0EfEvPT2_S3_,comdat
	.protected	_Z19reduce_array_kernelILj6ELj32ELN6hipcub20BlockReduceAlgorithmE0EfEvPT2_S3_ ; -- Begin function _Z19reduce_array_kernelILj6ELj32ELN6hipcub20BlockReduceAlgorithmE0EfEvPT2_S3_
	.globl	_Z19reduce_array_kernelILj6ELj32ELN6hipcub20BlockReduceAlgorithmE0EfEvPT2_S3_
	.p2align	8
	.type	_Z19reduce_array_kernelILj6ELj32ELN6hipcub20BlockReduceAlgorithmE0EfEvPT2_S3_,@function
_Z19reduce_array_kernelILj6ELj32ELN6hipcub20BlockReduceAlgorithmE0EfEvPT2_S3_: ; @_Z19reduce_array_kernelILj6ELj32ELN6hipcub20BlockReduceAlgorithmE0EfEvPT2_S3_
; %bb.0:
	s_load_dwordx4 s[0:3], s[4:5], 0x0
	s_mul_i32 s4, s6, 6
	v_add_lshl_u32 v2, s4, v0, 5
	v_mov_b32_e32 v3, 0
	v_lshlrev_b64 v[4:5], 2, v[2:3]
	s_waitcnt lgkmcnt(0)
	v_mov_b32_e32 v1, s1
	v_add_co_u32_e32 v36, vcc, s0, v4
	v_addc_co_u32_e32 v37, vcc, v1, v5, vcc
	global_load_dwordx4 v[4:7], v[36:37], off
	global_load_dwordx4 v[8:11], v[36:37], off offset:16
	global_load_dwordx4 v[12:15], v[36:37], off offset:32
	;; [unrolled: 1-line block ×7, first 2 shown]
	v_mbcnt_lo_u32_b32 v1, -1, 0
	v_mbcnt_hi_u32_b32 v37, -1, v1
	v_cmp_gt_u32_e32 vcc, 64, v0
	v_and_b32_e32 v1, 7, v37
	v_cndmask_b32_e64 v36, 0, 6, vcc
	v_cmp_ne_u32_e32 vcc, 7, v1
	v_addc_co_u32_e32 v2, vcc, 0, v37, vcc
	v_lshlrev_b32_e32 v39, 2, v2
	v_cmp_gt_u32_e32 vcc, 6, v1
	v_add_u32_e32 v38, 1, v1
	v_cmp_gt_u32_e64 s[0:1], 4, v1
	s_mov_b32 s7, 0
	s_waitcnt vmcnt(7)
	v_add_f32_e32 v2, v4, v5
	v_add_f32_e32 v2, v2, v6
	v_add_f32_e32 v2, v2, v7
	s_waitcnt vmcnt(6)
	v_add_f32_e32 v2, v2, v8
	v_add_f32_e32 v2, v2, v9
	v_add_f32_e32 v2, v2, v10
	v_add_f32_e32 v2, v2, v11
	s_waitcnt vmcnt(5)
	v_add_f32_e32 v2, v2, v12
	;; [unrolled: 5-line block ×7, first 2 shown]
	v_add_f32_e32 v2, v2, v33
	v_add_f32_e32 v2, v2, v34
	;; [unrolled: 1-line block ×3, first 2 shown]
	ds_bpermute_b32 v4, v39, v2
	v_cndmask_b32_e64 v5, 0, 1, vcc
	v_lshlrev_b32_e32 v5, 1, v5
	v_cmp_lt_u32_e32 vcc, v38, v36
	v_add_lshl_u32 v5, v5, v37, 2
	s_waitcnt lgkmcnt(0)
	v_add_f32_e32 v4, v2, v4
	v_cndmask_b32_e32 v4, v2, v4, vcc
	ds_bpermute_b32 v5, v5, v4
	v_add_u32_e32 v6, 2, v1
	v_cndmask_b32_e64 v7, 0, 1, s[0:1]
	v_lshlrev_b32_e32 v7, 2, v7
	v_cmp_lt_u32_e64 s[0:1], v6, v36
	s_waitcnt lgkmcnt(0)
	v_add_f32_e32 v5, v4, v5
	v_cndmask_b32_e64 v4, v4, v5, s[0:1]
	v_add_lshl_u32 v5, v7, v37, 2
	ds_bpermute_b32 v5, v5, v4
	v_cmp_eq_u32_e64 s[0:1], 0, v0
	s_and_saveexec_b64 s[4:5], s[0:1]
	s_cbranch_execz .LBB103_2
; %bb.1:
	s_lshl_b64 s[0:1], s[6:7], 2
	s_add_u32 s2, s2, s0
	s_addc_u32 s3, s3, s1
	s_waitcnt lgkmcnt(0)
	v_add_f32_e32 v0, v4, v5
	v_cmp_gt_u32_e64 s[0:1], 2, v1
	v_cndmask_b32_e64 v0, v4, v0, s[0:1]
	v_cndmask_b32_e32 v0, v2, v0, vcc
	global_store_dword v3, v0, s[2:3]
.LBB103_2:
	s_endpgm
	.section	.rodata,"a",@progbits
	.p2align	6, 0x0
	.amdhsa_kernel _Z19reduce_array_kernelILj6ELj32ELN6hipcub20BlockReduceAlgorithmE0EfEvPT2_S3_
		.amdhsa_group_segment_fixed_size 0
		.amdhsa_private_segment_fixed_size 0
		.amdhsa_kernarg_size 16
		.amdhsa_user_sgpr_count 6
		.amdhsa_user_sgpr_private_segment_buffer 1
		.amdhsa_user_sgpr_dispatch_ptr 0
		.amdhsa_user_sgpr_queue_ptr 0
		.amdhsa_user_sgpr_kernarg_segment_ptr 1
		.amdhsa_user_sgpr_dispatch_id 0
		.amdhsa_user_sgpr_flat_scratch_init 0
		.amdhsa_user_sgpr_kernarg_preload_length 0
		.amdhsa_user_sgpr_kernarg_preload_offset 0
		.amdhsa_user_sgpr_private_segment_size 0
		.amdhsa_uses_dynamic_stack 0
		.amdhsa_system_sgpr_private_segment_wavefront_offset 0
		.amdhsa_system_sgpr_workgroup_id_x 1
		.amdhsa_system_sgpr_workgroup_id_y 0
		.amdhsa_system_sgpr_workgroup_id_z 0
		.amdhsa_system_sgpr_workgroup_info 0
		.amdhsa_system_vgpr_workitem_id 0
		.amdhsa_next_free_vgpr 40
		.amdhsa_next_free_sgpr 8
		.amdhsa_accum_offset 40
		.amdhsa_reserve_vcc 1
		.amdhsa_reserve_flat_scratch 0
		.amdhsa_float_round_mode_32 0
		.amdhsa_float_round_mode_16_64 0
		.amdhsa_float_denorm_mode_32 3
		.amdhsa_float_denorm_mode_16_64 3
		.amdhsa_dx10_clamp 1
		.amdhsa_ieee_mode 1
		.amdhsa_fp16_overflow 0
		.amdhsa_tg_split 0
		.amdhsa_exception_fp_ieee_invalid_op 0
		.amdhsa_exception_fp_denorm_src 0
		.amdhsa_exception_fp_ieee_div_zero 0
		.amdhsa_exception_fp_ieee_overflow 0
		.amdhsa_exception_fp_ieee_underflow 0
		.amdhsa_exception_fp_ieee_inexact 0
		.amdhsa_exception_int_div_zero 0
	.end_amdhsa_kernel
	.section	.text._Z19reduce_array_kernelILj6ELj32ELN6hipcub20BlockReduceAlgorithmE0EfEvPT2_S3_,"axG",@progbits,_Z19reduce_array_kernelILj6ELj32ELN6hipcub20BlockReduceAlgorithmE0EfEvPT2_S3_,comdat
.Lfunc_end103:
	.size	_Z19reduce_array_kernelILj6ELj32ELN6hipcub20BlockReduceAlgorithmE0EfEvPT2_S3_, .Lfunc_end103-_Z19reduce_array_kernelILj6ELj32ELN6hipcub20BlockReduceAlgorithmE0EfEvPT2_S3_
                                        ; -- End function
	.section	.AMDGPU.csdata,"",@progbits
; Kernel info:
; codeLenInByte = 508
; NumSgprs: 12
; NumVgprs: 40
; NumAgprs: 0
; TotalNumVgprs: 40
; ScratchSize: 0
; MemoryBound: 0
; FloatMode: 240
; IeeeMode: 1
; LDSByteSize: 0 bytes/workgroup (compile time only)
; SGPRBlocks: 1
; VGPRBlocks: 4
; NumSGPRsForWavesPerEU: 12
; NumVGPRsForWavesPerEU: 40
; AccumOffset: 40
; Occupancy: 8
; WaveLimiterHint : 0
; COMPUTE_PGM_RSRC2:SCRATCH_EN: 0
; COMPUTE_PGM_RSRC2:USER_SGPR: 6
; COMPUTE_PGM_RSRC2:TRAP_HANDLER: 0
; COMPUTE_PGM_RSRC2:TGID_X_EN: 1
; COMPUTE_PGM_RSRC2:TGID_Y_EN: 0
; COMPUTE_PGM_RSRC2:TGID_Z_EN: 0
; COMPUTE_PGM_RSRC2:TIDIG_COMP_CNT: 0
; COMPUTE_PGM_RSRC3_GFX90A:ACCUM_OFFSET: 9
; COMPUTE_PGM_RSRC3_GFX90A:TG_SPLIT: 0
	.text
	.p2alignl 6, 3212836864
	.fill 256, 4, 3212836864
	.type	__hip_cuid_42d064142a693e89,@object ; @__hip_cuid_42d064142a693e89
	.section	.bss,"aw",@nobits
	.globl	__hip_cuid_42d064142a693e89
__hip_cuid_42d064142a693e89:
	.byte	0                               ; 0x0
	.size	__hip_cuid_42d064142a693e89, 1

	.ident	"AMD clang version 19.0.0git (https://github.com/RadeonOpenCompute/llvm-project roc-6.4.0 25133 c7fe45cf4b819c5991fe208aaa96edf142730f1d)"
	.section	".note.GNU-stack","",@progbits
	.addrsig
	.addrsig_sym __hip_cuid_42d064142a693e89
	.amdgpu_metadata
---
amdhsa.kernels:
  - .agpr_count:     0
    .args:
      - .address_space:  global
        .offset:         0
        .size:           8
        .value_kind:     global_buffer
      - .address_space:  global
        .offset:         8
        .size:           8
        .value_kind:     global_buffer
    .group_segment_fixed_size: 377
    .kernarg_segment_align: 8
    .kernarg_segment_size: 16
    .language:       OpenCL C
    .language_version:
      - 2
      - 0
    .max_flat_workgroup_size: 377
    .name:           _Z13reduce_kernelILj377ELN6hipcub20BlockReduceAlgorithmE2EhEvPT1_S3_
    .private_segment_fixed_size: 0
    .sgpr_count:     11
    .sgpr_spill_count: 0
    .symbol:         _Z13reduce_kernelILj377ELN6hipcub20BlockReduceAlgorithmE2EhEvPT1_S3_.kd
    .uniform_work_group_size: 1
    .uses_dynamic_stack: false
    .vgpr_count:     7
    .vgpr_spill_count: 0
    .wavefront_size: 64
  - .agpr_count:     0
    .args:
      - .address_space:  global
        .offset:         0
        .size:           8
        .value_kind:     global_buffer
      - .address_space:  global
        .offset:         8
        .size:           8
        .value_kind:     global_buffer
    .group_segment_fixed_size: 1508
    .kernarg_segment_align: 8
    .kernarg_segment_size: 16
    .language:       OpenCL C
    .language_version:
      - 2
      - 0
    .max_flat_workgroup_size: 377
    .name:           _Z13reduce_kernelILj377ELN6hipcub20BlockReduceAlgorithmE2EiEvPT1_S3_
    .private_segment_fixed_size: 0
    .sgpr_count:     12
    .sgpr_spill_count: 0
    .symbol:         _Z13reduce_kernelILj377ELN6hipcub20BlockReduceAlgorithmE2EiEvPT1_S3_.kd
    .uniform_work_group_size: 1
    .uses_dynamic_stack: false
    .vgpr_count:     8
    .vgpr_spill_count: 0
    .wavefront_size: 64
  - .agpr_count:     0
    .args:
      - .address_space:  global
        .offset:         0
        .size:           8
        .value_kind:     global_buffer
      - .address_space:  global
        .offset:         8
        .size:           8
        .value_kind:     global_buffer
    .group_segment_fixed_size: 1020
    .kernarg_segment_align: 8
    .kernarg_segment_size: 16
    .language:       OpenCL C
    .language_version:
      - 2
      - 0
    .max_flat_workgroup_size: 255
    .name:           _Z13reduce_kernelILj255ELN6hipcub20BlockReduceAlgorithmE2EjEvPT1_S3_
    .private_segment_fixed_size: 0
    .sgpr_count:     12
    .sgpr_spill_count: 0
    .symbol:         _Z13reduce_kernelILj255ELN6hipcub20BlockReduceAlgorithmE2EjEvPT1_S3_.kd
    .uniform_work_group_size: 1
    .uses_dynamic_stack: false
    .vgpr_count:     6
    .vgpr_spill_count: 0
    .wavefront_size: 64
  - .agpr_count:     0
    .args:
      - .address_space:  global
        .offset:         0
        .size:           8
        .value_kind:     global_buffer
      - .address_space:  global
        .offset:         8
        .size:           8
        .value_kind:     global_buffer
    .group_segment_fixed_size: 324
    .kernarg_segment_align: 8
    .kernarg_segment_size: 16
    .language:       OpenCL C
    .language_version:
      - 2
      - 0
    .max_flat_workgroup_size: 162
    .name:           _Z13reduce_kernelILj162ELN6hipcub20BlockReduceAlgorithmE2EsEvPT1_S3_
    .private_segment_fixed_size: 0
    .sgpr_count:     12
    .sgpr_spill_count: 0
    .symbol:         _Z13reduce_kernelILj162ELN6hipcub20BlockReduceAlgorithmE2EsEvPT1_S3_.kd
    .uniform_work_group_size: 1
    .uses_dynamic_stack: false
    .vgpr_count:     5
    .vgpr_spill_count: 0
    .wavefront_size: 64
  - .agpr_count:     0
    .args:
      - .address_space:  global
        .offset:         0
        .size:           8
        .value_kind:     global_buffer
      - .address_space:  global
        .offset:         8
        .size:           8
        .value_kind:     global_buffer
    .group_segment_fixed_size: 296
    .kernarg_segment_align: 8
    .kernarg_segment_size: 16
    .language:       OpenCL C
    .language_version:
      - 2
      - 0
    .max_flat_workgroup_size: 37
    .name:           _Z13reduce_kernelILj37ELN6hipcub20BlockReduceAlgorithmE2ElEvPT1_S3_
    .private_segment_fixed_size: 0
    .sgpr_count:     12
    .sgpr_spill_count: 0
    .symbol:         _Z13reduce_kernelILj37ELN6hipcub20BlockReduceAlgorithmE2ElEvPT1_S3_.kd
    .uniform_work_group_size: 1
    .uses_dynamic_stack: false
    .vgpr_count:     11
    .vgpr_spill_count: 0
    .wavefront_size: 64
  - .agpr_count:     0
    .args:
      - .address_space:  global
        .offset:         0
        .size:           8
        .value_kind:     global_buffer
      - .address_space:  global
        .offset:         8
        .size:           8
        .value_kind:     global_buffer
    .group_segment_fixed_size: 520
    .kernarg_segment_align: 8
    .kernarg_segment_size: 16
    .language:       OpenCL C
    .language_version:
      - 2
      - 0
    .max_flat_workgroup_size: 65
    .name:           _Z13reduce_kernelILj65ELN6hipcub20BlockReduceAlgorithmE2EmEvPT1_S3_
    .private_segment_fixed_size: 0
    .sgpr_count:     12
    .sgpr_spill_count: 0
    .symbol:         _Z13reduce_kernelILj65ELN6hipcub20BlockReduceAlgorithmE2EmEvPT1_S3_.kd
    .uniform_work_group_size: 1
    .uses_dynamic_stack: false
    .vgpr_count:     6
    .vgpr_spill_count: 0
    .wavefront_size: 64
  - .agpr_count:     0
    .args:
      - .address_space:  global
        .offset:         0
        .size:           8
        .value_kind:     global_buffer
      - .address_space:  global
        .offset:         8
        .size:           8
        .value_kind:     global_buffer
    .group_segment_fixed_size: 4096
    .kernarg_segment_align: 8
    .kernarg_segment_size: 16
    .language:       OpenCL C
    .language_version:
      - 2
      - 0
    .max_flat_workgroup_size: 1024
    .name:           _Z13reduce_kernelILj1024ELN6hipcub20BlockReduceAlgorithmE2EiEvPT1_S3_
    .private_segment_fixed_size: 0
    .sgpr_count:     12
    .sgpr_spill_count: 0
    .symbol:         _Z13reduce_kernelILj1024ELN6hipcub20BlockReduceAlgorithmE2EiEvPT1_S3_.kd
    .uniform_work_group_size: 1
    .uses_dynamic_stack: false
    .vgpr_count:     14
    .vgpr_spill_count: 0
    .wavefront_size: 64
  - .agpr_count:     0
    .args:
      - .address_space:  global
        .offset:         0
        .size:           8
        .value_kind:     global_buffer
      - .address_space:  global
        .offset:         8
        .size:           8
        .value_kind:     global_buffer
    .group_segment_fixed_size: 2048
    .kernarg_segment_align: 8
    .kernarg_segment_size: 16
    .language:       OpenCL C
    .language_version:
      - 2
      - 0
    .max_flat_workgroup_size: 512
    .name:           _Z13reduce_kernelILj512ELN6hipcub20BlockReduceAlgorithmE2EiEvPT1_S3_
    .private_segment_fixed_size: 0
    .sgpr_count:     12
    .sgpr_spill_count: 0
    .symbol:         _Z13reduce_kernelILj512ELN6hipcub20BlockReduceAlgorithmE2EiEvPT1_S3_.kd
    .uniform_work_group_size: 1
    .uses_dynamic_stack: false
    .vgpr_count:     10
    .vgpr_spill_count: 0
    .wavefront_size: 64
  - .agpr_count:     0
    .args:
      - .address_space:  global
        .offset:         0
        .size:           8
        .value_kind:     global_buffer
      - .address_space:  global
        .offset:         8
        .size:           8
        .value_kind:     global_buffer
    .group_segment_fixed_size: 1024
    .kernarg_segment_align: 8
    .kernarg_segment_size: 16
    .language:       OpenCL C
    .language_version:
      - 2
      - 0
    .max_flat_workgroup_size: 256
    .name:           _Z13reduce_kernelILj256ELN6hipcub20BlockReduceAlgorithmE2EiEvPT1_S3_
    .private_segment_fixed_size: 0
    .sgpr_count:     12
    .sgpr_spill_count: 0
    .symbol:         _Z13reduce_kernelILj256ELN6hipcub20BlockReduceAlgorithmE2EiEvPT1_S3_.kd
    .uniform_work_group_size: 1
    .uses_dynamic_stack: false
    .vgpr_count:     7
    .vgpr_spill_count: 0
    .wavefront_size: 64
  - .agpr_count:     0
    .args:
      - .address_space:  global
        .offset:         0
        .size:           8
        .value_kind:     global_buffer
      - .address_space:  global
        .offset:         8
        .size:           8
        .value_kind:     global_buffer
    .group_segment_fixed_size: 768
    .kernarg_segment_align: 8
    .kernarg_segment_size: 16
    .language:       OpenCL C
    .language_version:
      - 2
      - 0
    .max_flat_workgroup_size: 192
    .name:           _Z13reduce_kernelILj192ELN6hipcub20BlockReduceAlgorithmE2EiEvPT1_S3_
    .private_segment_fixed_size: 0
    .sgpr_count:     12
    .sgpr_spill_count: 0
    .symbol:         _Z13reduce_kernelILj192ELN6hipcub20BlockReduceAlgorithmE2EiEvPT1_S3_.kd
    .uniform_work_group_size: 1
    .uses_dynamic_stack: false
    .vgpr_count:     6
    .vgpr_spill_count: 0
    .wavefront_size: 64
  - .agpr_count:     0
    .args:
      - .address_space:  global
        .offset:         0
        .size:           8
        .value_kind:     global_buffer
      - .address_space:  global
        .offset:         8
        .size:           8
        .value_kind:     global_buffer
    .group_segment_fixed_size: 512
    .kernarg_segment_align: 8
    .kernarg_segment_size: 16
    .language:       OpenCL C
    .language_version:
      - 2
      - 0
    .max_flat_workgroup_size: 128
    .name:           _Z13reduce_kernelILj128ELN6hipcub20BlockReduceAlgorithmE2EiEvPT1_S3_
    .private_segment_fixed_size: 0
    .sgpr_count:     12
    .sgpr_spill_count: 0
    .symbol:         _Z13reduce_kernelILj128ELN6hipcub20BlockReduceAlgorithmE2EiEvPT1_S3_.kd
    .uniform_work_group_size: 1
    .uses_dynamic_stack: false
    .vgpr_count:     5
    .vgpr_spill_count: 0
    .wavefront_size: 64
  - .agpr_count:     0
    .args:
      - .address_space:  global
        .offset:         0
        .size:           8
        .value_kind:     global_buffer
      - .address_space:  global
        .offset:         8
        .size:           8
        .value_kind:     global_buffer
    .group_segment_fixed_size: 256
    .kernarg_segment_align: 8
    .kernarg_segment_size: 16
    .language:       OpenCL C
    .language_version:
      - 2
      - 0
    .max_flat_workgroup_size: 64
    .name:           _Z13reduce_kernelILj64ELN6hipcub20BlockReduceAlgorithmE2EiEvPT1_S3_
    .private_segment_fixed_size: 0
    .sgpr_count:     12
    .sgpr_spill_count: 0
    .symbol:         _Z13reduce_kernelILj64ELN6hipcub20BlockReduceAlgorithmE2EiEvPT1_S3_.kd
    .uniform_work_group_size: 1
    .uses_dynamic_stack: false
    .vgpr_count:     4
    .vgpr_spill_count: 0
    .wavefront_size: 64
  - .agpr_count:     0
    .args:
      - .address_space:  global
        .offset:         0
        .size:           8
        .value_kind:     global_buffer
      - .address_space:  global
        .offset:         8
        .size:           8
        .value_kind:     global_buffer
    .group_segment_fixed_size: 377
    .kernarg_segment_align: 8
    .kernarg_segment_size: 16
    .language:       OpenCL C
    .language_version:
      - 2
      - 0
    .max_flat_workgroup_size: 377
    .name:           _Z13reduce_kernelILj377ELN6hipcub20BlockReduceAlgorithmE1EhEvPT1_S3_
    .private_segment_fixed_size: 0
    .sgpr_count:     11
    .sgpr_spill_count: 0
    .symbol:         _Z13reduce_kernelILj377ELN6hipcub20BlockReduceAlgorithmE1EhEvPT1_S3_.kd
    .uniform_work_group_size: 1
    .uses_dynamic_stack: false
    .vgpr_count:     9
    .vgpr_spill_count: 0
    .wavefront_size: 64
  - .agpr_count:     0
    .args:
      - .address_space:  global
        .offset:         0
        .size:           8
        .value_kind:     global_buffer
      - .address_space:  global
        .offset:         8
        .size:           8
        .value_kind:     global_buffer
    .group_segment_fixed_size: 1508
    .kernarg_segment_align: 8
    .kernarg_segment_size: 16
    .language:       OpenCL C
    .language_version:
      - 2
      - 0
    .max_flat_workgroup_size: 377
    .name:           _Z13reduce_kernelILj377ELN6hipcub20BlockReduceAlgorithmE1EiEvPT1_S3_
    .private_segment_fixed_size: 0
    .sgpr_count:     12
    .sgpr_spill_count: 0
    .symbol:         _Z13reduce_kernelILj377ELN6hipcub20BlockReduceAlgorithmE1EiEvPT1_S3_.kd
    .uniform_work_group_size: 1
    .uses_dynamic_stack: false
    .vgpr_count:     8
    .vgpr_spill_count: 0
    .wavefront_size: 64
  - .agpr_count:     0
    .args:
      - .address_space:  global
        .offset:         0
        .size:           8
        .value_kind:     global_buffer
      - .address_space:  global
        .offset:         8
        .size:           8
        .value_kind:     global_buffer
    .group_segment_fixed_size: 1020
    .kernarg_segment_align: 8
    .kernarg_segment_size: 16
    .language:       OpenCL C
    .language_version:
      - 2
      - 0
    .max_flat_workgroup_size: 255
    .name:           _Z13reduce_kernelILj255ELN6hipcub20BlockReduceAlgorithmE1EjEvPT1_S3_
    .private_segment_fixed_size: 0
    .sgpr_count:     12
    .sgpr_spill_count: 0
    .symbol:         _Z13reduce_kernelILj255ELN6hipcub20BlockReduceAlgorithmE1EjEvPT1_S3_.kd
    .uniform_work_group_size: 1
    .uses_dynamic_stack: false
    .vgpr_count:     6
    .vgpr_spill_count: 0
    .wavefront_size: 64
  - .agpr_count:     0
    .args:
      - .address_space:  global
        .offset:         0
        .size:           8
        .value_kind:     global_buffer
      - .address_space:  global
        .offset:         8
        .size:           8
        .value_kind:     global_buffer
    .group_segment_fixed_size: 324
    .kernarg_segment_align: 8
    .kernarg_segment_size: 16
    .language:       OpenCL C
    .language_version:
      - 2
      - 0
    .max_flat_workgroup_size: 162
    .name:           _Z13reduce_kernelILj162ELN6hipcub20BlockReduceAlgorithmE1EsEvPT1_S3_
    .private_segment_fixed_size: 0
    .sgpr_count:     12
    .sgpr_spill_count: 0
    .symbol:         _Z13reduce_kernelILj162ELN6hipcub20BlockReduceAlgorithmE1EsEvPT1_S3_.kd
    .uniform_work_group_size: 1
    .uses_dynamic_stack: false
    .vgpr_count:     7
    .vgpr_spill_count: 0
    .wavefront_size: 64
  - .agpr_count:     0
    .args:
      - .address_space:  global
        .offset:         0
        .size:           8
        .value_kind:     global_buffer
      - .address_space:  global
        .offset:         8
        .size:           8
        .value_kind:     global_buffer
    .group_segment_fixed_size: 296
    .kernarg_segment_align: 8
    .kernarg_segment_size: 16
    .language:       OpenCL C
    .language_version:
      - 2
      - 0
    .max_flat_workgroup_size: 37
    .name:           _Z13reduce_kernelILj37ELN6hipcub20BlockReduceAlgorithmE1ElEvPT1_S3_
    .private_segment_fixed_size: 0
    .sgpr_count:     12
    .sgpr_spill_count: 0
    .symbol:         _Z13reduce_kernelILj37ELN6hipcub20BlockReduceAlgorithmE1ElEvPT1_S3_.kd
    .uniform_work_group_size: 1
    .uses_dynamic_stack: false
    .vgpr_count:     11
    .vgpr_spill_count: 0
    .wavefront_size: 64
  - .agpr_count:     0
    .args:
      - .address_space:  global
        .offset:         0
        .size:           8
        .value_kind:     global_buffer
      - .address_space:  global
        .offset:         8
        .size:           8
        .value_kind:     global_buffer
    .group_segment_fixed_size: 520
    .kernarg_segment_align: 8
    .kernarg_segment_size: 16
    .language:       OpenCL C
    .language_version:
      - 2
      - 0
    .max_flat_workgroup_size: 65
    .name:           _Z13reduce_kernelILj65ELN6hipcub20BlockReduceAlgorithmE1EmEvPT1_S3_
    .private_segment_fixed_size: 0
    .sgpr_count:     12
    .sgpr_spill_count: 0
    .symbol:         _Z13reduce_kernelILj65ELN6hipcub20BlockReduceAlgorithmE1EmEvPT1_S3_.kd
    .uniform_work_group_size: 1
    .uses_dynamic_stack: false
    .vgpr_count:     11
    .vgpr_spill_count: 0
    .wavefront_size: 64
  - .agpr_count:     0
    .args:
      - .address_space:  global
        .offset:         0
        .size:           8
        .value_kind:     global_buffer
      - .address_space:  global
        .offset:         8
        .size:           8
        .value_kind:     global_buffer
    .group_segment_fixed_size: 4096
    .kernarg_segment_align: 8
    .kernarg_segment_size: 16
    .language:       OpenCL C
    .language_version:
      - 2
      - 0
    .max_flat_workgroup_size: 1024
    .name:           _Z13reduce_kernelILj1024ELN6hipcub20BlockReduceAlgorithmE1EiEvPT1_S3_
    .private_segment_fixed_size: 0
    .sgpr_count:     12
    .sgpr_spill_count: 0
    .symbol:         _Z13reduce_kernelILj1024ELN6hipcub20BlockReduceAlgorithmE1EiEvPT1_S3_.kd
    .uniform_work_group_size: 1
    .uses_dynamic_stack: false
    .vgpr_count:     18
    .vgpr_spill_count: 0
    .wavefront_size: 64
  - .agpr_count:     0
    .args:
      - .address_space:  global
        .offset:         0
        .size:           8
        .value_kind:     global_buffer
      - .address_space:  global
        .offset:         8
        .size:           8
        .value_kind:     global_buffer
    .group_segment_fixed_size: 2048
    .kernarg_segment_align: 8
    .kernarg_segment_size: 16
    .language:       OpenCL C
    .language_version:
      - 2
      - 0
    .max_flat_workgroup_size: 512
    .name:           _Z13reduce_kernelILj512ELN6hipcub20BlockReduceAlgorithmE1EiEvPT1_S3_
    .private_segment_fixed_size: 0
    .sgpr_count:     12
    .sgpr_spill_count: 0
    .symbol:         _Z13reduce_kernelILj512ELN6hipcub20BlockReduceAlgorithmE1EiEvPT1_S3_.kd
    .uniform_work_group_size: 1
    .uses_dynamic_stack: false
    .vgpr_count:     10
    .vgpr_spill_count: 0
    .wavefront_size: 64
  - .agpr_count:     0
    .args:
      - .address_space:  global
        .offset:         0
        .size:           8
        .value_kind:     global_buffer
      - .address_space:  global
        .offset:         8
        .size:           8
        .value_kind:     global_buffer
    .group_segment_fixed_size: 1024
    .kernarg_segment_align: 8
    .kernarg_segment_size: 16
    .language:       OpenCL C
    .language_version:
      - 2
      - 0
    .max_flat_workgroup_size: 256
    .name:           _Z13reduce_kernelILj256ELN6hipcub20BlockReduceAlgorithmE1EiEvPT1_S3_
    .private_segment_fixed_size: 0
    .sgpr_count:     12
    .sgpr_spill_count: 0
    .symbol:         _Z13reduce_kernelILj256ELN6hipcub20BlockReduceAlgorithmE1EiEvPT1_S3_.kd
    .uniform_work_group_size: 1
    .uses_dynamic_stack: false
    .vgpr_count:     7
    .vgpr_spill_count: 0
    .wavefront_size: 64
  - .agpr_count:     0
    .args:
      - .address_space:  global
        .offset:         0
        .size:           8
        .value_kind:     global_buffer
      - .address_space:  global
        .offset:         8
        .size:           8
        .value_kind:     global_buffer
    .group_segment_fixed_size: 768
    .kernarg_segment_align: 8
    .kernarg_segment_size: 16
    .language:       OpenCL C
    .language_version:
      - 2
      - 0
    .max_flat_workgroup_size: 192
    .name:           _Z13reduce_kernelILj192ELN6hipcub20BlockReduceAlgorithmE1EiEvPT1_S3_
    .private_segment_fixed_size: 0
    .sgpr_count:     12
    .sgpr_spill_count: 0
    .symbol:         _Z13reduce_kernelILj192ELN6hipcub20BlockReduceAlgorithmE1EiEvPT1_S3_.kd
    .uniform_work_group_size: 1
    .uses_dynamic_stack: false
    .vgpr_count:     6
    .vgpr_spill_count: 0
    .wavefront_size: 64
  - .agpr_count:     0
    .args:
      - .address_space:  global
        .offset:         0
        .size:           8
        .value_kind:     global_buffer
      - .address_space:  global
        .offset:         8
        .size:           8
        .value_kind:     global_buffer
    .group_segment_fixed_size: 512
    .kernarg_segment_align: 8
    .kernarg_segment_size: 16
    .language:       OpenCL C
    .language_version:
      - 2
      - 0
    .max_flat_workgroup_size: 128
    .name:           _Z13reduce_kernelILj128ELN6hipcub20BlockReduceAlgorithmE1EiEvPT1_S3_
    .private_segment_fixed_size: 0
    .sgpr_count:     12
    .sgpr_spill_count: 0
    .symbol:         _Z13reduce_kernelILj128ELN6hipcub20BlockReduceAlgorithmE1EiEvPT1_S3_.kd
    .uniform_work_group_size: 1
    .uses_dynamic_stack: false
    .vgpr_count:     5
    .vgpr_spill_count: 0
    .wavefront_size: 64
  - .agpr_count:     0
    .args:
      - .address_space:  global
        .offset:         0
        .size:           8
        .value_kind:     global_buffer
      - .address_space:  global
        .offset:         8
        .size:           8
        .value_kind:     global_buffer
    .group_segment_fixed_size: 256
    .kernarg_segment_align: 8
    .kernarg_segment_size: 16
    .language:       OpenCL C
    .language_version:
      - 2
      - 0
    .max_flat_workgroup_size: 64
    .name:           _Z13reduce_kernelILj64ELN6hipcub20BlockReduceAlgorithmE1EiEvPT1_S3_
    .private_segment_fixed_size: 0
    .sgpr_count:     12
    .sgpr_spill_count: 0
    .symbol:         _Z13reduce_kernelILj64ELN6hipcub20BlockReduceAlgorithmE1EiEvPT1_S3_.kd
    .uniform_work_group_size: 1
    .uses_dynamic_stack: false
    .vgpr_count:     5
    .vgpr_spill_count: 0
    .wavefront_size: 64
  - .agpr_count:     0
    .args:
      - .address_space:  global
        .offset:         0
        .size:           8
        .value_kind:     global_buffer
      - .address_space:  global
        .offset:         8
        .size:           8
        .value_kind:     global_buffer
    .group_segment_fixed_size: 48
    .kernarg_segment_align: 8
    .kernarg_segment_size: 16
    .language:       OpenCL C
    .language_version:
      - 2
      - 0
    .max_flat_workgroup_size: 377
    .name:           _Z13reduce_kernelILj377ELN6hipcub20BlockReduceAlgorithmE0ElEvPT1_S3_
    .private_segment_fixed_size: 0
    .sgpr_count:     14
    .sgpr_spill_count: 0
    .symbol:         _Z13reduce_kernelILj377ELN6hipcub20BlockReduceAlgorithmE0ElEvPT1_S3_.kd
    .uniform_work_group_size: 1
    .uses_dynamic_stack: false
    .vgpr_count:     20
    .vgpr_spill_count: 0
    .wavefront_size: 64
  - .agpr_count:     0
    .args:
      - .address_space:  global
        .offset:         0
        .size:           8
        .value_kind:     global_buffer
      - .address_space:  global
        .offset:         8
        .size:           8
        .value_kind:     global_buffer
    .group_segment_fixed_size: 32
    .kernarg_segment_align: 8
    .kernarg_segment_size: 16
    .language:       OpenCL C
    .language_version:
      - 2
      - 0
    .max_flat_workgroup_size: 256
    .name:           _Z13reduce_kernelILj256ELN6hipcub20BlockReduceAlgorithmE0ElEvPT1_S3_
    .private_segment_fixed_size: 0
    .sgpr_count:     12
    .sgpr_spill_count: 0
    .symbol:         _Z13reduce_kernelILj256ELN6hipcub20BlockReduceAlgorithmE0ElEvPT1_S3_.kd
    .uniform_work_group_size: 1
    .uses_dynamic_stack: false
    .vgpr_count:     7
    .vgpr_spill_count: 0
    .wavefront_size: 64
  - .agpr_count:     0
    .args:
      - .address_space:  global
        .offset:         0
        .size:           8
        .value_kind:     global_buffer
      - .address_space:  global
        .offset:         8
        .size:           8
        .value_kind:     global_buffer
    .group_segment_fixed_size: 0
    .kernarg_segment_align: 8
    .kernarg_segment_size: 16
    .language:       OpenCL C
    .language_version:
      - 2
      - 0
    .max_flat_workgroup_size: 64
    .name:           _Z13reduce_kernelILj64ELN6hipcub20BlockReduceAlgorithmE0ElEvPT1_S3_
    .private_segment_fixed_size: 0
    .sgpr_count:     12
    .sgpr_spill_count: 0
    .symbol:         _Z13reduce_kernelILj64ELN6hipcub20BlockReduceAlgorithmE0ElEvPT1_S3_.kd
    .uniform_work_group_size: 1
    .uses_dynamic_stack: false
    .vgpr_count:     7
    .vgpr_spill_count: 0
    .wavefront_size: 64
  - .agpr_count:     0
    .args:
      - .address_space:  global
        .offset:         0
        .size:           8
        .value_kind:     global_buffer
      - .address_space:  global
        .offset:         8
        .size:           8
        .value_kind:     global_buffer
    .group_segment_fixed_size: 24
    .kernarg_segment_align: 8
    .kernarg_segment_size: 16
    .language:       OpenCL C
    .language_version:
      - 2
      - 0
    .max_flat_workgroup_size: 377
    .name:           _Z13reduce_kernelILj377ELN6hipcub20BlockReduceAlgorithmE0EjEvPT1_S3_
    .private_segment_fixed_size: 0
    .sgpr_count:     12
    .sgpr_spill_count: 0
    .symbol:         _Z13reduce_kernelILj377ELN6hipcub20BlockReduceAlgorithmE0EjEvPT1_S3_.kd
    .uniform_work_group_size: 1
    .uses_dynamic_stack: false
    .vgpr_count:     12
    .vgpr_spill_count: 0
    .wavefront_size: 64
  - .agpr_count:     0
    .args:
      - .address_space:  global
        .offset:         0
        .size:           8
        .value_kind:     global_buffer
      - .address_space:  global
        .offset:         8
        .size:           8
        .value_kind:     global_buffer
    .group_segment_fixed_size: 16
    .kernarg_segment_align: 8
    .kernarg_segment_size: 16
    .language:       OpenCL C
    .language_version:
      - 2
      - 0
    .max_flat_workgroup_size: 256
    .name:           _Z13reduce_kernelILj256ELN6hipcub20BlockReduceAlgorithmE0EjEvPT1_S3_
    .private_segment_fixed_size: 0
    .sgpr_count:     12
    .sgpr_spill_count: 0
    .symbol:         _Z13reduce_kernelILj256ELN6hipcub20BlockReduceAlgorithmE0EjEvPT1_S3_.kd
    .uniform_work_group_size: 1
    .uses_dynamic_stack: false
    .vgpr_count:     5
    .vgpr_spill_count: 0
    .wavefront_size: 64
  - .agpr_count:     0
    .args:
      - .address_space:  global
        .offset:         0
        .size:           8
        .value_kind:     global_buffer
      - .address_space:  global
        .offset:         8
        .size:           8
        .value_kind:     global_buffer
    .group_segment_fixed_size: 0
    .kernarg_segment_align: 8
    .kernarg_segment_size: 16
    .language:       OpenCL C
    .language_version:
      - 2
      - 0
    .max_flat_workgroup_size: 64
    .name:           _Z13reduce_kernelILj64ELN6hipcub20BlockReduceAlgorithmE0EjEvPT1_S3_
    .private_segment_fixed_size: 0
    .sgpr_count:     12
    .sgpr_spill_count: 0
    .symbol:         _Z13reduce_kernelILj64ELN6hipcub20BlockReduceAlgorithmE0EjEvPT1_S3_.kd
    .uniform_work_group_size: 1
    .uses_dynamic_stack: false
    .vgpr_count:     6
    .vgpr_spill_count: 0
    .wavefront_size: 64
  - .agpr_count:     0
    .args:
      - .address_space:  global
        .offset:         0
        .size:           8
        .value_kind:     global_buffer
      - .address_space:  global
        .offset:         8
        .size:           8
        .value_kind:     global_buffer
    .group_segment_fixed_size: 16
    .kernarg_segment_align: 8
    .kernarg_segment_size: 16
    .language:       OpenCL C
    .language_version:
      - 2
      - 0
    .max_flat_workgroup_size: 255
    .name:           _Z13reduce_kernelILj255ELN6hipcub20BlockReduceAlgorithmE0EiEvPT1_S3_
    .private_segment_fixed_size: 0
    .sgpr_count:     12
    .sgpr_spill_count: 0
    .symbol:         _Z13reduce_kernelILj255ELN6hipcub20BlockReduceAlgorithmE0EiEvPT1_S3_.kd
    .uniform_work_group_size: 1
    .uses_dynamic_stack: false
    .vgpr_count:     12
    .vgpr_spill_count: 0
    .wavefront_size: 64
  - .agpr_count:     0
    .args:
      - .address_space:  global
        .offset:         0
        .size:           8
        .value_kind:     global_buffer
      - .address_space:  global
        .offset:         8
        .size:           8
        .value_kind:     global_buffer
    .group_segment_fixed_size: 12
    .kernarg_segment_align: 8
    .kernarg_segment_size: 16
    .language:       OpenCL C
    .language_version:
      - 2
      - 0
    .max_flat_workgroup_size: 162
    .name:           _Z13reduce_kernelILj162ELN6hipcub20BlockReduceAlgorithmE0EiEvPT1_S3_
    .private_segment_fixed_size: 0
    .sgpr_count:     12
    .sgpr_spill_count: 0
    .symbol:         _Z13reduce_kernelILj162ELN6hipcub20BlockReduceAlgorithmE0EiEvPT1_S3_.kd
    .uniform_work_group_size: 1
    .uses_dynamic_stack: false
    .vgpr_count:     12
    .vgpr_spill_count: 0
    .wavefront_size: 64
  - .agpr_count:     0
    .args:
      - .address_space:  global
        .offset:         0
        .size:           8
        .value_kind:     global_buffer
      - .address_space:  global
        .offset:         8
        .size:           8
        .value_kind:     global_buffer
    .group_segment_fixed_size: 12
    .kernarg_segment_align: 8
    .kernarg_segment_size: 16
    .language:       OpenCL C
    .language_version:
      - 2
      - 0
    .max_flat_workgroup_size: 129
    .name:           _Z13reduce_kernelILj129ELN6hipcub20BlockReduceAlgorithmE0EiEvPT1_S3_
    .private_segment_fixed_size: 0
    .sgpr_count:     12
    .sgpr_spill_count: 0
    .symbol:         _Z13reduce_kernelILj129ELN6hipcub20BlockReduceAlgorithmE0EiEvPT1_S3_.kd
    .uniform_work_group_size: 1
    .uses_dynamic_stack: false
    .vgpr_count:     12
    .vgpr_spill_count: 0
    .wavefront_size: 64
  - .agpr_count:     0
    .args:
      - .address_space:  global
        .offset:         0
        .size:           8
        .value_kind:     global_buffer
      - .address_space:  global
        .offset:         8
        .size:           8
        .value_kind:     global_buffer
    .group_segment_fixed_size: 0
    .kernarg_segment_align: 8
    .kernarg_segment_size: 16
    .language:       OpenCL C
    .language_version:
      - 2
      - 0
    .max_flat_workgroup_size: 37
    .name:           _Z13reduce_kernelILj37ELN6hipcub20BlockReduceAlgorithmE0EiEvPT1_S3_
    .private_segment_fixed_size: 0
    .sgpr_count:     12
    .sgpr_spill_count: 0
    .symbol:         _Z13reduce_kernelILj37ELN6hipcub20BlockReduceAlgorithmE0EiEvPT1_S3_.kd
    .uniform_work_group_size: 1
    .uses_dynamic_stack: false
    .vgpr_count:     13
    .vgpr_spill_count: 0
    .wavefront_size: 64
  - .agpr_count:     0
    .args:
      - .address_space:  global
        .offset:         0
        .size:           8
        .value_kind:     global_buffer
      - .address_space:  global
        .offset:         8
        .size:           8
        .value_kind:     global_buffer
    .group_segment_fixed_size: 8
    .kernarg_segment_align: 8
    .kernarg_segment_size: 16
    .language:       OpenCL C
    .language_version:
      - 2
      - 0
    .max_flat_workgroup_size: 65
    .name:           _Z13reduce_kernelILj65ELN6hipcub20BlockReduceAlgorithmE0EiEvPT1_S3_
    .private_segment_fixed_size: 0
    .sgpr_count:     12
    .sgpr_spill_count: 0
    .symbol:         _Z13reduce_kernelILj65ELN6hipcub20BlockReduceAlgorithmE0EiEvPT1_S3_.kd
    .uniform_work_group_size: 1
    .uses_dynamic_stack: false
    .vgpr_count:     12
    .vgpr_spill_count: 0
    .wavefront_size: 64
  - .agpr_count:     0
    .args:
      - .address_space:  global
        .offset:         0
        .size:           8
        .value_kind:     global_buffer
      - .address_space:  global
        .offset:         8
        .size:           8
        .value_kind:     global_buffer
    .group_segment_fixed_size: 64
    .kernarg_segment_align: 8
    .kernarg_segment_size: 16
    .language:       OpenCL C
    .language_version:
      - 2
      - 0
    .max_flat_workgroup_size: 1024
    .name:           _Z13reduce_kernelILj1024ELN6hipcub20BlockReduceAlgorithmE0EiEvPT1_S3_
    .private_segment_fixed_size: 0
    .sgpr_count:     12
    .sgpr_spill_count: 0
    .symbol:         _Z13reduce_kernelILj1024ELN6hipcub20BlockReduceAlgorithmE0EiEvPT1_S3_.kd
    .uniform_work_group_size: 1
    .uses_dynamic_stack: false
    .vgpr_count:     6
    .vgpr_spill_count: 0
    .wavefront_size: 64
  - .agpr_count:     0
    .args:
      - .address_space:  global
        .offset:         0
        .size:           8
        .value_kind:     global_buffer
      - .address_space:  global
        .offset:         8
        .size:           8
        .value_kind:     global_buffer
    .group_segment_fixed_size: 32
    .kernarg_segment_align: 8
    .kernarg_segment_size: 16
    .language:       OpenCL C
    .language_version:
      - 2
      - 0
    .max_flat_workgroup_size: 512
    .name:           _Z13reduce_kernelILj512ELN6hipcub20BlockReduceAlgorithmE0EiEvPT1_S3_
    .private_segment_fixed_size: 0
    .sgpr_count:     12
    .sgpr_spill_count: 0
    .symbol:         _Z13reduce_kernelILj512ELN6hipcub20BlockReduceAlgorithmE0EiEvPT1_S3_.kd
    .uniform_work_group_size: 1
    .uses_dynamic_stack: false
    .vgpr_count:     6
    .vgpr_spill_count: 0
    .wavefront_size: 64
  - .agpr_count:     0
    .args:
      - .address_space:  global
        .offset:         0
        .size:           8
        .value_kind:     global_buffer
      - .address_space:  global
        .offset:         8
        .size:           8
        .value_kind:     global_buffer
    .group_segment_fixed_size: 16
    .kernarg_segment_align: 8
    .kernarg_segment_size: 16
    .language:       OpenCL C
    .language_version:
      - 2
      - 0
    .max_flat_workgroup_size: 256
    .name:           _Z13reduce_kernelILj256ELN6hipcub20BlockReduceAlgorithmE0EiEvPT1_S3_
    .private_segment_fixed_size: 0
    .sgpr_count:     12
    .sgpr_spill_count: 0
    .symbol:         _Z13reduce_kernelILj256ELN6hipcub20BlockReduceAlgorithmE0EiEvPT1_S3_.kd
    .uniform_work_group_size: 1
    .uses_dynamic_stack: false
    .vgpr_count:     5
    .vgpr_spill_count: 0
    .wavefront_size: 64
  - .agpr_count:     0
    .args:
      - .address_space:  global
        .offset:         0
        .size:           8
        .value_kind:     global_buffer
      - .address_space:  global
        .offset:         8
        .size:           8
        .value_kind:     global_buffer
    .group_segment_fixed_size: 12
    .kernarg_segment_align: 8
    .kernarg_segment_size: 16
    .language:       OpenCL C
    .language_version:
      - 2
      - 0
    .max_flat_workgroup_size: 192
    .name:           _Z13reduce_kernelILj192ELN6hipcub20BlockReduceAlgorithmE0EiEvPT1_S3_
    .private_segment_fixed_size: 0
    .sgpr_count:     12
    .sgpr_spill_count: 0
    .symbol:         _Z13reduce_kernelILj192ELN6hipcub20BlockReduceAlgorithmE0EiEvPT1_S3_.kd
    .uniform_work_group_size: 1
    .uses_dynamic_stack: false
    .vgpr_count:     6
    .vgpr_spill_count: 0
    .wavefront_size: 64
  - .agpr_count:     0
    .args:
      - .address_space:  global
        .offset:         0
        .size:           8
        .value_kind:     global_buffer
      - .address_space:  global
        .offset:         8
        .size:           8
        .value_kind:     global_buffer
    .group_segment_fixed_size: 8
    .kernarg_segment_align: 8
    .kernarg_segment_size: 16
    .language:       OpenCL C
    .language_version:
      - 2
      - 0
    .max_flat_workgroup_size: 128
    .name:           _Z13reduce_kernelILj128ELN6hipcub20BlockReduceAlgorithmE0EiEvPT1_S3_
    .private_segment_fixed_size: 0
    .sgpr_count:     12
    .sgpr_spill_count: 0
    .symbol:         _Z13reduce_kernelILj128ELN6hipcub20BlockReduceAlgorithmE0EiEvPT1_S3_.kd
    .uniform_work_group_size: 1
    .uses_dynamic_stack: false
    .vgpr_count:     5
    .vgpr_spill_count: 0
    .wavefront_size: 64
  - .agpr_count:     0
    .args:
      - .address_space:  global
        .offset:         0
        .size:           8
        .value_kind:     global_buffer
      - .address_space:  global
        .offset:         8
        .size:           8
        .value_kind:     global_buffer
    .group_segment_fixed_size: 0
    .kernarg_segment_align: 8
    .kernarg_segment_size: 16
    .language:       OpenCL C
    .language_version:
      - 2
      - 0
    .max_flat_workgroup_size: 64
    .name:           _Z13reduce_kernelILj64ELN6hipcub20BlockReduceAlgorithmE0EiEvPT1_S3_
    .private_segment_fixed_size: 0
    .sgpr_count:     12
    .sgpr_spill_count: 0
    .symbol:         _Z13reduce_kernelILj64ELN6hipcub20BlockReduceAlgorithmE0EiEvPT1_S3_.kd
    .uniform_work_group_size: 1
    .uses_dynamic_stack: false
    .vgpr_count:     6
    .vgpr_spill_count: 0
    .wavefront_size: 64
  - .agpr_count:     0
    .args:
      - .address_space:  global
        .offset:         0
        .size:           8
        .value_kind:     global_buffer
      - .address_space:  global
        .offset:         8
        .size:           8
        .value_kind:     global_buffer
      - .offset:         16
        .size:           4
        .value_kind:     by_value
    .group_segment_fixed_size: 377
    .kernarg_segment_align: 8
    .kernarg_segment_size: 20
    .language:       OpenCL C
    .language_version:
      - 2
      - 0
    .max_flat_workgroup_size: 377
    .name:           _Z19reduce_valid_kernelILj377ELN6hipcub20BlockReduceAlgorithmE2EhEvPT1_S3_j
    .private_segment_fixed_size: 0
    .sgpr_count:     20
    .sgpr_spill_count: 0
    .symbol:         _Z19reduce_valid_kernelILj377ELN6hipcub20BlockReduceAlgorithmE2EhEvPT1_S3_j.kd
    .uniform_work_group_size: 1
    .uses_dynamic_stack: false
    .vgpr_count:     35
    .vgpr_spill_count: 0
    .wavefront_size: 64
  - .agpr_count:     0
    .args:
      - .address_space:  global
        .offset:         0
        .size:           8
        .value_kind:     global_buffer
      - .address_space:  global
        .offset:         8
        .size:           8
        .value_kind:     global_buffer
      - .offset:         16
        .size:           4
        .value_kind:     by_value
    .group_segment_fixed_size: 1508
    .kernarg_segment_align: 8
    .kernarg_segment_size: 20
    .language:       OpenCL C
    .language_version:
      - 2
      - 0
    .max_flat_workgroup_size: 377
    .name:           _Z19reduce_valid_kernelILj377ELN6hipcub20BlockReduceAlgorithmE2EiEvPT1_S3_j
    .private_segment_fixed_size: 0
    .sgpr_count:     20
    .sgpr_spill_count: 0
    .symbol:         _Z19reduce_valid_kernelILj377ELN6hipcub20BlockReduceAlgorithmE2EiEvPT1_S3_j.kd
    .uniform_work_group_size: 1
    .uses_dynamic_stack: false
    .vgpr_count:     11
    .vgpr_spill_count: 0
    .wavefront_size: 64
  - .agpr_count:     0
    .args:
      - .address_space:  global
        .offset:         0
        .size:           8
        .value_kind:     global_buffer
      - .address_space:  global
        .offset:         8
        .size:           8
        .value_kind:     global_buffer
      - .offset:         16
        .size:           4
        .value_kind:     by_value
    .group_segment_fixed_size: 1020
    .kernarg_segment_align: 8
    .kernarg_segment_size: 20
    .language:       OpenCL C
    .language_version:
      - 2
      - 0
    .max_flat_workgroup_size: 255
    .name:           _Z19reduce_valid_kernelILj255ELN6hipcub20BlockReduceAlgorithmE2EjEvPT1_S3_j
    .private_segment_fixed_size: 0
    .sgpr_count:     20
    .sgpr_spill_count: 0
    .symbol:         _Z19reduce_valid_kernelILj255ELN6hipcub20BlockReduceAlgorithmE2EjEvPT1_S3_j.kd
    .uniform_work_group_size: 1
    .uses_dynamic_stack: false
    .vgpr_count:     11
    .vgpr_spill_count: 0
    .wavefront_size: 64
  - .agpr_count:     0
    .args:
      - .address_space:  global
        .offset:         0
        .size:           8
        .value_kind:     global_buffer
      - .address_space:  global
        .offset:         8
        .size:           8
        .value_kind:     global_buffer
      - .offset:         16
        .size:           4
        .value_kind:     by_value
    .group_segment_fixed_size: 324
    .kernarg_segment_align: 8
    .kernarg_segment_size: 20
    .language:       OpenCL C
    .language_version:
      - 2
      - 0
    .max_flat_workgroup_size: 162
    .name:           _Z19reduce_valid_kernelILj162ELN6hipcub20BlockReduceAlgorithmE2EsEvPT1_S3_j
    .private_segment_fixed_size: 0
    .sgpr_count:     21
    .sgpr_spill_count: 0
    .symbol:         _Z19reduce_valid_kernelILj162ELN6hipcub20BlockReduceAlgorithmE2EsEvPT1_S3_j.kd
    .uniform_work_group_size: 1
    .uses_dynamic_stack: false
    .vgpr_count:     15
    .vgpr_spill_count: 0
    .wavefront_size: 64
  - .agpr_count:     0
    .args:
      - .address_space:  global
        .offset:         0
        .size:           8
        .value_kind:     global_buffer
      - .address_space:  global
        .offset:         8
        .size:           8
        .value_kind:     global_buffer
      - .offset:         16
        .size:           4
        .value_kind:     by_value
    .group_segment_fixed_size: 296
    .kernarg_segment_align: 8
    .kernarg_segment_size: 20
    .language:       OpenCL C
    .language_version:
      - 2
      - 0
    .max_flat_workgroup_size: 37
    .name:           _Z19reduce_valid_kernelILj37ELN6hipcub20BlockReduceAlgorithmE2ElEvPT1_S3_j
    .private_segment_fixed_size: 0
    .sgpr_count:     16
    .sgpr_spill_count: 0
    .symbol:         _Z19reduce_valid_kernelILj37ELN6hipcub20BlockReduceAlgorithmE2ElEvPT1_S3_j.kd
    .uniform_work_group_size: 1
    .uses_dynamic_stack: false
    .vgpr_count:     11
    .vgpr_spill_count: 0
    .wavefront_size: 64
  - .agpr_count:     0
    .args:
      - .address_space:  global
        .offset:         0
        .size:           8
        .value_kind:     global_buffer
      - .address_space:  global
        .offset:         8
        .size:           8
        .value_kind:     global_buffer
      - .offset:         16
        .size:           4
        .value_kind:     by_value
    .group_segment_fixed_size: 520
    .kernarg_segment_align: 8
    .kernarg_segment_size: 20
    .language:       OpenCL C
    .language_version:
      - 2
      - 0
    .max_flat_workgroup_size: 65
    .name:           _Z19reduce_valid_kernelILj65ELN6hipcub20BlockReduceAlgorithmE2EmEvPT1_S3_j
    .private_segment_fixed_size: 0
    .sgpr_count:     16
    .sgpr_spill_count: 0
    .symbol:         _Z19reduce_valid_kernelILj65ELN6hipcub20BlockReduceAlgorithmE2EmEvPT1_S3_j.kd
    .uniform_work_group_size: 1
    .uses_dynamic_stack: false
    .vgpr_count:     11
    .vgpr_spill_count: 0
    .wavefront_size: 64
  - .agpr_count:     0
    .args:
      - .address_space:  global
        .offset:         0
        .size:           8
        .value_kind:     global_buffer
      - .address_space:  global
        .offset:         8
        .size:           8
        .value_kind:     global_buffer
      - .offset:         16
        .size:           4
        .value_kind:     by_value
    .group_segment_fixed_size: 4096
    .kernarg_segment_align: 8
    .kernarg_segment_size: 20
    .language:       OpenCL C
    .language_version:
      - 2
      - 0
    .max_flat_workgroup_size: 1024
    .name:           _Z19reduce_valid_kernelILj1024ELN6hipcub20BlockReduceAlgorithmE2EiEvPT1_S3_j
    .private_segment_fixed_size: 0
    .sgpr_count:     20
    .sgpr_spill_count: 0
    .symbol:         _Z19reduce_valid_kernelILj1024ELN6hipcub20BlockReduceAlgorithmE2EiEvPT1_S3_j.kd
    .uniform_work_group_size: 1
    .uses_dynamic_stack: false
    .vgpr_count:     11
    .vgpr_spill_count: 0
    .wavefront_size: 64
  - .agpr_count:     0
    .args:
      - .address_space:  global
        .offset:         0
        .size:           8
        .value_kind:     global_buffer
      - .address_space:  global
        .offset:         8
        .size:           8
        .value_kind:     global_buffer
      - .offset:         16
        .size:           4
        .value_kind:     by_value
    .group_segment_fixed_size: 2048
    .kernarg_segment_align: 8
    .kernarg_segment_size: 20
    .language:       OpenCL C
    .language_version:
      - 2
      - 0
    .max_flat_workgroup_size: 512
    .name:           _Z19reduce_valid_kernelILj512ELN6hipcub20BlockReduceAlgorithmE2EiEvPT1_S3_j
    .private_segment_fixed_size: 0
    .sgpr_count:     20
    .sgpr_spill_count: 0
    .symbol:         _Z19reduce_valid_kernelILj512ELN6hipcub20BlockReduceAlgorithmE2EiEvPT1_S3_j.kd
    .uniform_work_group_size: 1
    .uses_dynamic_stack: false
    .vgpr_count:     11
    .vgpr_spill_count: 0
    .wavefront_size: 64
  - .agpr_count:     0
    .args:
      - .address_space:  global
        .offset:         0
        .size:           8
        .value_kind:     global_buffer
      - .address_space:  global
        .offset:         8
        .size:           8
        .value_kind:     global_buffer
      - .offset:         16
        .size:           4
        .value_kind:     by_value
    .group_segment_fixed_size: 1024
    .kernarg_segment_align: 8
    .kernarg_segment_size: 20
    .language:       OpenCL C
    .language_version:
      - 2
      - 0
    .max_flat_workgroup_size: 256
    .name:           _Z19reduce_valid_kernelILj256ELN6hipcub20BlockReduceAlgorithmE2EiEvPT1_S3_j
    .private_segment_fixed_size: 0
    .sgpr_count:     20
    .sgpr_spill_count: 0
    .symbol:         _Z19reduce_valid_kernelILj256ELN6hipcub20BlockReduceAlgorithmE2EiEvPT1_S3_j.kd
    .uniform_work_group_size: 1
    .uses_dynamic_stack: false
    .vgpr_count:     11
    .vgpr_spill_count: 0
    .wavefront_size: 64
  - .agpr_count:     0
    .args:
      - .address_space:  global
        .offset:         0
        .size:           8
        .value_kind:     global_buffer
      - .address_space:  global
        .offset:         8
        .size:           8
        .value_kind:     global_buffer
      - .offset:         16
        .size:           4
        .value_kind:     by_value
    .group_segment_fixed_size: 768
    .kernarg_segment_align: 8
    .kernarg_segment_size: 20
    .language:       OpenCL C
    .language_version:
      - 2
      - 0
    .max_flat_workgroup_size: 192
    .name:           _Z19reduce_valid_kernelILj192ELN6hipcub20BlockReduceAlgorithmE2EiEvPT1_S3_j
    .private_segment_fixed_size: 0
    .sgpr_count:     20
    .sgpr_spill_count: 0
    .symbol:         _Z19reduce_valid_kernelILj192ELN6hipcub20BlockReduceAlgorithmE2EiEvPT1_S3_j.kd
    .uniform_work_group_size: 1
    .uses_dynamic_stack: false
    .vgpr_count:     11
    .vgpr_spill_count: 0
    .wavefront_size: 64
  - .agpr_count:     0
    .args:
      - .address_space:  global
        .offset:         0
        .size:           8
        .value_kind:     global_buffer
      - .address_space:  global
        .offset:         8
        .size:           8
        .value_kind:     global_buffer
      - .offset:         16
        .size:           4
        .value_kind:     by_value
    .group_segment_fixed_size: 512
    .kernarg_segment_align: 8
    .kernarg_segment_size: 20
    .language:       OpenCL C
    .language_version:
      - 2
      - 0
    .max_flat_workgroup_size: 128
    .name:           _Z19reduce_valid_kernelILj128ELN6hipcub20BlockReduceAlgorithmE2EiEvPT1_S3_j
    .private_segment_fixed_size: 0
    .sgpr_count:     20
    .sgpr_spill_count: 0
    .symbol:         _Z19reduce_valid_kernelILj128ELN6hipcub20BlockReduceAlgorithmE2EiEvPT1_S3_j.kd
    .uniform_work_group_size: 1
    .uses_dynamic_stack: false
    .vgpr_count:     11
    .vgpr_spill_count: 0
    .wavefront_size: 64
  - .agpr_count:     0
    .args:
      - .address_space:  global
        .offset:         0
        .size:           8
        .value_kind:     global_buffer
      - .address_space:  global
        .offset:         8
        .size:           8
        .value_kind:     global_buffer
      - .offset:         16
        .size:           4
        .value_kind:     by_value
    .group_segment_fixed_size: 256
    .kernarg_segment_align: 8
    .kernarg_segment_size: 20
    .language:       OpenCL C
    .language_version:
      - 2
      - 0
    .max_flat_workgroup_size: 64
    .name:           _Z19reduce_valid_kernelILj64ELN6hipcub20BlockReduceAlgorithmE2EiEvPT1_S3_j
    .private_segment_fixed_size: 0
    .sgpr_count:     20
    .sgpr_spill_count: 0
    .symbol:         _Z19reduce_valid_kernelILj64ELN6hipcub20BlockReduceAlgorithmE2EiEvPT1_S3_j.kd
    .uniform_work_group_size: 1
    .uses_dynamic_stack: false
    .vgpr_count:     11
    .vgpr_spill_count: 0
    .wavefront_size: 64
  - .agpr_count:     0
    .args:
      - .address_space:  global
        .offset:         0
        .size:           8
        .value_kind:     global_buffer
      - .address_space:  global
        .offset:         8
        .size:           8
        .value_kind:     global_buffer
      - .offset:         16
        .size:           4
        .value_kind:     by_value
    .group_segment_fixed_size: 377
    .kernarg_segment_align: 8
    .kernarg_segment_size: 20
    .language:       OpenCL C
    .language_version:
      - 2
      - 0
    .max_flat_workgroup_size: 377
    .name:           _Z19reduce_valid_kernelILj377ELN6hipcub20BlockReduceAlgorithmE1EhEvPT1_S3_j
    .private_segment_fixed_size: 0
    .sgpr_count:     16
    .sgpr_spill_count: 0
    .symbol:         _Z19reduce_valid_kernelILj377ELN6hipcub20BlockReduceAlgorithmE1EhEvPT1_S3_j.kd
    .uniform_work_group_size: 1
    .uses_dynamic_stack: false
    .vgpr_count:     9
    .vgpr_spill_count: 0
    .wavefront_size: 64
  - .agpr_count:     0
    .args:
      - .address_space:  global
        .offset:         0
        .size:           8
        .value_kind:     global_buffer
      - .address_space:  global
        .offset:         8
        .size:           8
        .value_kind:     global_buffer
      - .offset:         16
        .size:           4
        .value_kind:     by_value
    .group_segment_fixed_size: 1508
    .kernarg_segment_align: 8
    .kernarg_segment_size: 20
    .language:       OpenCL C
    .language_version:
      - 2
      - 0
    .max_flat_workgroup_size: 377
    .name:           _Z19reduce_valid_kernelILj377ELN6hipcub20BlockReduceAlgorithmE1EiEvPT1_S3_j
    .private_segment_fixed_size: 0
    .sgpr_count:     12
    .sgpr_spill_count: 0
    .symbol:         _Z19reduce_valid_kernelILj377ELN6hipcub20BlockReduceAlgorithmE1EiEvPT1_S3_j.kd
    .uniform_work_group_size: 1
    .uses_dynamic_stack: false
    .vgpr_count:     6
    .vgpr_spill_count: 0
    .wavefront_size: 64
  - .agpr_count:     0
    .args:
      - .address_space:  global
        .offset:         0
        .size:           8
        .value_kind:     global_buffer
      - .address_space:  global
        .offset:         8
        .size:           8
        .value_kind:     global_buffer
      - .offset:         16
        .size:           4
        .value_kind:     by_value
    .group_segment_fixed_size: 1020
    .kernarg_segment_align: 8
    .kernarg_segment_size: 20
    .language:       OpenCL C
    .language_version:
      - 2
      - 0
    .max_flat_workgroup_size: 255
    .name:           _Z19reduce_valid_kernelILj255ELN6hipcub20BlockReduceAlgorithmE1EjEvPT1_S3_j
    .private_segment_fixed_size: 0
    .sgpr_count:     12
    .sgpr_spill_count: 0
    .symbol:         _Z19reduce_valid_kernelILj255ELN6hipcub20BlockReduceAlgorithmE1EjEvPT1_S3_j.kd
    .uniform_work_group_size: 1
    .uses_dynamic_stack: false
    .vgpr_count:     6
    .vgpr_spill_count: 0
    .wavefront_size: 64
  - .agpr_count:     0
    .args:
      - .address_space:  global
        .offset:         0
        .size:           8
        .value_kind:     global_buffer
      - .address_space:  global
        .offset:         8
        .size:           8
        .value_kind:     global_buffer
      - .offset:         16
        .size:           4
        .value_kind:     by_value
    .group_segment_fixed_size: 324
    .kernarg_segment_align: 8
    .kernarg_segment_size: 20
    .language:       OpenCL C
    .language_version:
      - 2
      - 0
    .max_flat_workgroup_size: 162
    .name:           _Z19reduce_valid_kernelILj162ELN6hipcub20BlockReduceAlgorithmE1EsEvPT1_S3_j
    .private_segment_fixed_size: 0
    .sgpr_count:     16
    .sgpr_spill_count: 0
    .symbol:         _Z19reduce_valid_kernelILj162ELN6hipcub20BlockReduceAlgorithmE1EsEvPT1_S3_j.kd
    .uniform_work_group_size: 1
    .uses_dynamic_stack: false
    .vgpr_count:     8
    .vgpr_spill_count: 0
    .wavefront_size: 64
  - .agpr_count:     0
    .args:
      - .address_space:  global
        .offset:         0
        .size:           8
        .value_kind:     global_buffer
      - .address_space:  global
        .offset:         8
        .size:           8
        .value_kind:     global_buffer
      - .offset:         16
        .size:           4
        .value_kind:     by_value
    .group_segment_fixed_size: 296
    .kernarg_segment_align: 8
    .kernarg_segment_size: 20
    .language:       OpenCL C
    .language_version:
      - 2
      - 0
    .max_flat_workgroup_size: 37
    .name:           _Z19reduce_valid_kernelILj37ELN6hipcub20BlockReduceAlgorithmE1ElEvPT1_S3_j
    .private_segment_fixed_size: 0
    .sgpr_count:     16
    .sgpr_spill_count: 0
    .symbol:         _Z19reduce_valid_kernelILj37ELN6hipcub20BlockReduceAlgorithmE1ElEvPT1_S3_j.kd
    .uniform_work_group_size: 1
    .uses_dynamic_stack: false
    .vgpr_count:     11
    .vgpr_spill_count: 0
    .wavefront_size: 64
  - .agpr_count:     0
    .args:
      - .address_space:  global
        .offset:         0
        .size:           8
        .value_kind:     global_buffer
      - .address_space:  global
        .offset:         8
        .size:           8
        .value_kind:     global_buffer
      - .offset:         16
        .size:           4
        .value_kind:     by_value
    .group_segment_fixed_size: 520
    .kernarg_segment_align: 8
    .kernarg_segment_size: 20
    .language:       OpenCL C
    .language_version:
      - 2
      - 0
    .max_flat_workgroup_size: 65
    .name:           _Z19reduce_valid_kernelILj65ELN6hipcub20BlockReduceAlgorithmE1EmEvPT1_S3_j
    .private_segment_fixed_size: 0
    .sgpr_count:     16
    .sgpr_spill_count: 0
    .symbol:         _Z19reduce_valid_kernelILj65ELN6hipcub20BlockReduceAlgorithmE1EmEvPT1_S3_j.kd
    .uniform_work_group_size: 1
    .uses_dynamic_stack: false
    .vgpr_count:     11
    .vgpr_spill_count: 0
    .wavefront_size: 64
  - .agpr_count:     0
    .args:
      - .address_space:  global
        .offset:         0
        .size:           8
        .value_kind:     global_buffer
      - .address_space:  global
        .offset:         8
        .size:           8
        .value_kind:     global_buffer
      - .offset:         16
        .size:           4
        .value_kind:     by_value
    .group_segment_fixed_size: 4096
    .kernarg_segment_align: 8
    .kernarg_segment_size: 20
    .language:       OpenCL C
    .language_version:
      - 2
      - 0
    .max_flat_workgroup_size: 1024
    .name:           _Z19reduce_valid_kernelILj1024ELN6hipcub20BlockReduceAlgorithmE1EiEvPT1_S3_j
    .private_segment_fixed_size: 0
    .sgpr_count:     12
    .sgpr_spill_count: 0
    .symbol:         _Z19reduce_valid_kernelILj1024ELN6hipcub20BlockReduceAlgorithmE1EiEvPT1_S3_j.kd
    .uniform_work_group_size: 1
    .uses_dynamic_stack: false
    .vgpr_count:     6
    .vgpr_spill_count: 0
    .wavefront_size: 64
  - .agpr_count:     0
    .args:
      - .address_space:  global
        .offset:         0
        .size:           8
        .value_kind:     global_buffer
      - .address_space:  global
        .offset:         8
        .size:           8
        .value_kind:     global_buffer
      - .offset:         16
        .size:           4
        .value_kind:     by_value
    .group_segment_fixed_size: 2048
    .kernarg_segment_align: 8
    .kernarg_segment_size: 20
    .language:       OpenCL C
    .language_version:
      - 2
      - 0
    .max_flat_workgroup_size: 512
    .name:           _Z19reduce_valid_kernelILj512ELN6hipcub20BlockReduceAlgorithmE1EiEvPT1_S3_j
    .private_segment_fixed_size: 0
    .sgpr_count:     12
    .sgpr_spill_count: 0
    .symbol:         _Z19reduce_valid_kernelILj512ELN6hipcub20BlockReduceAlgorithmE1EiEvPT1_S3_j.kd
    .uniform_work_group_size: 1
    .uses_dynamic_stack: false
    .vgpr_count:     6
    .vgpr_spill_count: 0
    .wavefront_size: 64
  - .agpr_count:     0
    .args:
      - .address_space:  global
        .offset:         0
        .size:           8
        .value_kind:     global_buffer
      - .address_space:  global
        .offset:         8
        .size:           8
        .value_kind:     global_buffer
      - .offset:         16
        .size:           4
        .value_kind:     by_value
    .group_segment_fixed_size: 1024
    .kernarg_segment_align: 8
    .kernarg_segment_size: 20
    .language:       OpenCL C
    .language_version:
      - 2
      - 0
    .max_flat_workgroup_size: 256
    .name:           _Z19reduce_valid_kernelILj256ELN6hipcub20BlockReduceAlgorithmE1EiEvPT1_S3_j
    .private_segment_fixed_size: 0
    .sgpr_count:     12
    .sgpr_spill_count: 0
    .symbol:         _Z19reduce_valid_kernelILj256ELN6hipcub20BlockReduceAlgorithmE1EiEvPT1_S3_j.kd
    .uniform_work_group_size: 1
    .uses_dynamic_stack: false
    .vgpr_count:     6
    .vgpr_spill_count: 0
    .wavefront_size: 64
  - .agpr_count:     0
    .args:
      - .address_space:  global
        .offset:         0
        .size:           8
        .value_kind:     global_buffer
      - .address_space:  global
        .offset:         8
        .size:           8
        .value_kind:     global_buffer
      - .offset:         16
        .size:           4
        .value_kind:     by_value
    .group_segment_fixed_size: 768
    .kernarg_segment_align: 8
    .kernarg_segment_size: 20
    .language:       OpenCL C
    .language_version:
      - 2
      - 0
    .max_flat_workgroup_size: 192
    .name:           _Z19reduce_valid_kernelILj192ELN6hipcub20BlockReduceAlgorithmE1EiEvPT1_S3_j
    .private_segment_fixed_size: 0
    .sgpr_count:     12
    .sgpr_spill_count: 0
    .symbol:         _Z19reduce_valid_kernelILj192ELN6hipcub20BlockReduceAlgorithmE1EiEvPT1_S3_j.kd
    .uniform_work_group_size: 1
    .uses_dynamic_stack: false
    .vgpr_count:     6
    .vgpr_spill_count: 0
    .wavefront_size: 64
  - .agpr_count:     0
    .args:
      - .address_space:  global
        .offset:         0
        .size:           8
        .value_kind:     global_buffer
      - .address_space:  global
        .offset:         8
        .size:           8
        .value_kind:     global_buffer
      - .offset:         16
        .size:           4
        .value_kind:     by_value
    .group_segment_fixed_size: 512
    .kernarg_segment_align: 8
    .kernarg_segment_size: 20
    .language:       OpenCL C
    .language_version:
      - 2
      - 0
    .max_flat_workgroup_size: 128
    .name:           _Z19reduce_valid_kernelILj128ELN6hipcub20BlockReduceAlgorithmE1EiEvPT1_S3_j
    .private_segment_fixed_size: 0
    .sgpr_count:     12
    .sgpr_spill_count: 0
    .symbol:         _Z19reduce_valid_kernelILj128ELN6hipcub20BlockReduceAlgorithmE1EiEvPT1_S3_j.kd
    .uniform_work_group_size: 1
    .uses_dynamic_stack: false
    .vgpr_count:     6
    .vgpr_spill_count: 0
    .wavefront_size: 64
  - .agpr_count:     0
    .args:
      - .address_space:  global
        .offset:         0
        .size:           8
        .value_kind:     global_buffer
      - .address_space:  global
        .offset:         8
        .size:           8
        .value_kind:     global_buffer
      - .offset:         16
        .size:           4
        .value_kind:     by_value
    .group_segment_fixed_size: 256
    .kernarg_segment_align: 8
    .kernarg_segment_size: 20
    .language:       OpenCL C
    .language_version:
      - 2
      - 0
    .max_flat_workgroup_size: 64
    .name:           _Z19reduce_valid_kernelILj64ELN6hipcub20BlockReduceAlgorithmE1EiEvPT1_S3_j
    .private_segment_fixed_size: 0
    .sgpr_count:     12
    .sgpr_spill_count: 0
    .symbol:         _Z19reduce_valid_kernelILj64ELN6hipcub20BlockReduceAlgorithmE1EiEvPT1_S3_j.kd
    .uniform_work_group_size: 1
    .uses_dynamic_stack: false
    .vgpr_count:     6
    .vgpr_spill_count: 0
    .wavefront_size: 64
  - .agpr_count:     0
    .args:
      - .address_space:  global
        .offset:         0
        .size:           8
        .value_kind:     global_buffer
      - .address_space:  global
        .offset:         8
        .size:           8
        .value_kind:     global_buffer
      - .offset:         16
        .size:           4
        .value_kind:     by_value
    .group_segment_fixed_size: 48
    .kernarg_segment_align: 8
    .kernarg_segment_size: 20
    .language:       OpenCL C
    .language_version:
      - 2
      - 0
    .max_flat_workgroup_size: 377
    .name:           _Z19reduce_valid_kernelILj377ELN6hipcub20BlockReduceAlgorithmE0ElEvPT1_S3_j
    .private_segment_fixed_size: 0
    .sgpr_count:     16
    .sgpr_spill_count: 0
    .symbol:         _Z19reduce_valid_kernelILj377ELN6hipcub20BlockReduceAlgorithmE0ElEvPT1_S3_j.kd
    .uniform_work_group_size: 1
    .uses_dynamic_stack: false
    .vgpr_count:     20
    .vgpr_spill_count: 0
    .wavefront_size: 64
  - .agpr_count:     0
    .args:
      - .address_space:  global
        .offset:         0
        .size:           8
        .value_kind:     global_buffer
      - .address_space:  global
        .offset:         8
        .size:           8
        .value_kind:     global_buffer
      - .offset:         16
        .size:           4
        .value_kind:     by_value
    .group_segment_fixed_size: 32
    .kernarg_segment_align: 8
    .kernarg_segment_size: 20
    .language:       OpenCL C
    .language_version:
      - 2
      - 0
    .max_flat_workgroup_size: 256
    .name:           _Z19reduce_valid_kernelILj256ELN6hipcub20BlockReduceAlgorithmE0ElEvPT1_S3_j
    .private_segment_fixed_size: 0
    .sgpr_count:     12
    .sgpr_spill_count: 0
    .symbol:         _Z19reduce_valid_kernelILj256ELN6hipcub20BlockReduceAlgorithmE0ElEvPT1_S3_j.kd
    .uniform_work_group_size: 1
    .uses_dynamic_stack: false
    .vgpr_count:     20
    .vgpr_spill_count: 0
    .wavefront_size: 64
  - .agpr_count:     0
    .args:
      - .address_space:  global
        .offset:         0
        .size:           8
        .value_kind:     global_buffer
      - .address_space:  global
        .offset:         8
        .size:           8
        .value_kind:     global_buffer
      - .offset:         16
        .size:           4
        .value_kind:     by_value
    .group_segment_fixed_size: 0
    .kernarg_segment_align: 8
    .kernarg_segment_size: 20
    .language:       OpenCL C
    .language_version:
      - 2
      - 0
    .max_flat_workgroup_size: 64
    .name:           _Z19reduce_valid_kernelILj64ELN6hipcub20BlockReduceAlgorithmE0ElEvPT1_S3_j
    .private_segment_fixed_size: 0
    .sgpr_count:     21
    .sgpr_spill_count: 0
    .symbol:         _Z19reduce_valid_kernelILj64ELN6hipcub20BlockReduceAlgorithmE0ElEvPT1_S3_j.kd
    .uniform_work_group_size: 1
    .uses_dynamic_stack: false
    .vgpr_count:     19
    .vgpr_spill_count: 0
    .wavefront_size: 64
  - .agpr_count:     0
    .args:
      - .address_space:  global
        .offset:         0
        .size:           8
        .value_kind:     global_buffer
      - .address_space:  global
        .offset:         8
        .size:           8
        .value_kind:     global_buffer
      - .offset:         16
        .size:           4
        .value_kind:     by_value
    .group_segment_fixed_size: 24
    .kernarg_segment_align: 8
    .kernarg_segment_size: 20
    .language:       OpenCL C
    .language_version:
      - 2
      - 0
    .max_flat_workgroup_size: 377
    .name:           _Z19reduce_valid_kernelILj377ELN6hipcub20BlockReduceAlgorithmE0EjEvPT1_S3_j
    .private_segment_fixed_size: 0
    .sgpr_count:     12
    .sgpr_spill_count: 0
    .symbol:         _Z19reduce_valid_kernelILj377ELN6hipcub20BlockReduceAlgorithmE0EjEvPT1_S3_j.kd
    .uniform_work_group_size: 1
    .uses_dynamic_stack: false
    .vgpr_count:     12
    .vgpr_spill_count: 0
    .wavefront_size: 64
  - .agpr_count:     0
    .args:
      - .address_space:  global
        .offset:         0
        .size:           8
        .value_kind:     global_buffer
      - .address_space:  global
        .offset:         8
        .size:           8
        .value_kind:     global_buffer
      - .offset:         16
        .size:           4
        .value_kind:     by_value
    .group_segment_fixed_size: 16
    .kernarg_segment_align: 8
    .kernarg_segment_size: 20
    .language:       OpenCL C
    .language_version:
      - 2
      - 0
    .max_flat_workgroup_size: 256
    .name:           _Z19reduce_valid_kernelILj256ELN6hipcub20BlockReduceAlgorithmE0EjEvPT1_S3_j
    .private_segment_fixed_size: 0
    .sgpr_count:     12
    .sgpr_spill_count: 0
    .symbol:         _Z19reduce_valid_kernelILj256ELN6hipcub20BlockReduceAlgorithmE0EjEvPT1_S3_j.kd
    .uniform_work_group_size: 1
    .uses_dynamic_stack: false
    .vgpr_count:     12
    .vgpr_spill_count: 0
    .wavefront_size: 64
  - .agpr_count:     0
    .args:
      - .address_space:  global
        .offset:         0
        .size:           8
        .value_kind:     global_buffer
      - .address_space:  global
        .offset:         8
        .size:           8
        .value_kind:     global_buffer
      - .offset:         16
        .size:           4
        .value_kind:     by_value
    .group_segment_fixed_size: 0
    .kernarg_segment_align: 8
    .kernarg_segment_size: 20
    .language:       OpenCL C
    .language_version:
      - 2
      - 0
    .max_flat_workgroup_size: 64
    .name:           _Z19reduce_valid_kernelILj64ELN6hipcub20BlockReduceAlgorithmE0EjEvPT1_S3_j
    .private_segment_fixed_size: 0
    .sgpr_count:     13
    .sgpr_spill_count: 0
    .symbol:         _Z19reduce_valid_kernelILj64ELN6hipcub20BlockReduceAlgorithmE0EjEvPT1_S3_j.kd
    .uniform_work_group_size: 1
    .uses_dynamic_stack: false
    .vgpr_count:     12
    .vgpr_spill_count: 0
    .wavefront_size: 64
  - .agpr_count:     0
    .args:
      - .address_space:  global
        .offset:         0
        .size:           8
        .value_kind:     global_buffer
      - .address_space:  global
        .offset:         8
        .size:           8
        .value_kind:     global_buffer
      - .offset:         16
        .size:           4
        .value_kind:     by_value
    .group_segment_fixed_size: 16
    .kernarg_segment_align: 8
    .kernarg_segment_size: 20
    .language:       OpenCL C
    .language_version:
      - 2
      - 0
    .max_flat_workgroup_size: 255
    .name:           _Z19reduce_valid_kernelILj255ELN6hipcub20BlockReduceAlgorithmE0EiEvPT1_S3_j
    .private_segment_fixed_size: 0
    .sgpr_count:     12
    .sgpr_spill_count: 0
    .symbol:         _Z19reduce_valid_kernelILj255ELN6hipcub20BlockReduceAlgorithmE0EiEvPT1_S3_j.kd
    .uniform_work_group_size: 1
    .uses_dynamic_stack: false
    .vgpr_count:     12
    .vgpr_spill_count: 0
    .wavefront_size: 64
  - .agpr_count:     0
    .args:
      - .address_space:  global
        .offset:         0
        .size:           8
        .value_kind:     global_buffer
      - .address_space:  global
        .offset:         8
        .size:           8
        .value_kind:     global_buffer
      - .offset:         16
        .size:           4
        .value_kind:     by_value
    .group_segment_fixed_size: 12
    .kernarg_segment_align: 8
    .kernarg_segment_size: 20
    .language:       OpenCL C
    .language_version:
      - 2
      - 0
    .max_flat_workgroup_size: 162
    .name:           _Z19reduce_valid_kernelILj162ELN6hipcub20BlockReduceAlgorithmE0EiEvPT1_S3_j
    .private_segment_fixed_size: 0
    .sgpr_count:     12
    .sgpr_spill_count: 0
    .symbol:         _Z19reduce_valid_kernelILj162ELN6hipcub20BlockReduceAlgorithmE0EiEvPT1_S3_j.kd
    .uniform_work_group_size: 1
    .uses_dynamic_stack: false
    .vgpr_count:     12
    .vgpr_spill_count: 0
    .wavefront_size: 64
  - .agpr_count:     0
    .args:
      - .address_space:  global
        .offset:         0
        .size:           8
        .value_kind:     global_buffer
      - .address_space:  global
        .offset:         8
        .size:           8
        .value_kind:     global_buffer
      - .offset:         16
        .size:           4
        .value_kind:     by_value
    .group_segment_fixed_size: 12
    .kernarg_segment_align: 8
    .kernarg_segment_size: 20
    .language:       OpenCL C
    .language_version:
      - 2
      - 0
    .max_flat_workgroup_size: 129
    .name:           _Z19reduce_valid_kernelILj129ELN6hipcub20BlockReduceAlgorithmE0EiEvPT1_S3_j
    .private_segment_fixed_size: 0
    .sgpr_count:     12
    .sgpr_spill_count: 0
    .symbol:         _Z19reduce_valid_kernelILj129ELN6hipcub20BlockReduceAlgorithmE0EiEvPT1_S3_j.kd
    .uniform_work_group_size: 1
    .uses_dynamic_stack: false
    .vgpr_count:     12
    .vgpr_spill_count: 0
    .wavefront_size: 64
  - .agpr_count:     0
    .args:
      - .address_space:  global
        .offset:         0
        .size:           8
        .value_kind:     global_buffer
      - .address_space:  global
        .offset:         8
        .size:           8
        .value_kind:     global_buffer
      - .offset:         16
        .size:           4
        .value_kind:     by_value
    .group_segment_fixed_size: 0
    .kernarg_segment_align: 8
    .kernarg_segment_size: 20
    .language:       OpenCL C
    .language_version:
      - 2
      - 0
    .max_flat_workgroup_size: 37
    .name:           _Z19reduce_valid_kernelILj37ELN6hipcub20BlockReduceAlgorithmE0EiEvPT1_S3_j
    .private_segment_fixed_size: 0
    .sgpr_count:     13
    .sgpr_spill_count: 0
    .symbol:         _Z19reduce_valid_kernelILj37ELN6hipcub20BlockReduceAlgorithmE0EiEvPT1_S3_j.kd
    .uniform_work_group_size: 1
    .uses_dynamic_stack: false
    .vgpr_count:     12
    .vgpr_spill_count: 0
    .wavefront_size: 64
  - .agpr_count:     0
    .args:
      - .address_space:  global
        .offset:         0
        .size:           8
        .value_kind:     global_buffer
      - .address_space:  global
        .offset:         8
        .size:           8
        .value_kind:     global_buffer
      - .offset:         16
        .size:           4
        .value_kind:     by_value
    .group_segment_fixed_size: 8
    .kernarg_segment_align: 8
    .kernarg_segment_size: 20
    .language:       OpenCL C
    .language_version:
      - 2
      - 0
    .max_flat_workgroup_size: 65
    .name:           _Z19reduce_valid_kernelILj65ELN6hipcub20BlockReduceAlgorithmE0EiEvPT1_S3_j
    .private_segment_fixed_size: 0
    .sgpr_count:     12
    .sgpr_spill_count: 0
    .symbol:         _Z19reduce_valid_kernelILj65ELN6hipcub20BlockReduceAlgorithmE0EiEvPT1_S3_j.kd
    .uniform_work_group_size: 1
    .uses_dynamic_stack: false
    .vgpr_count:     12
    .vgpr_spill_count: 0
    .wavefront_size: 64
  - .agpr_count:     0
    .args:
      - .address_space:  global
        .offset:         0
        .size:           8
        .value_kind:     global_buffer
      - .address_space:  global
        .offset:         8
        .size:           8
        .value_kind:     global_buffer
      - .offset:         16
        .size:           4
        .value_kind:     by_value
    .group_segment_fixed_size: 64
    .kernarg_segment_align: 8
    .kernarg_segment_size: 20
    .language:       OpenCL C
    .language_version:
      - 2
      - 0
    .max_flat_workgroup_size: 1024
    .name:           _Z19reduce_valid_kernelILj1024ELN6hipcub20BlockReduceAlgorithmE0EiEvPT1_S3_j
    .private_segment_fixed_size: 0
    .sgpr_count:     12
    .sgpr_spill_count: 0
    .symbol:         _Z19reduce_valid_kernelILj1024ELN6hipcub20BlockReduceAlgorithmE0EiEvPT1_S3_j.kd
    .uniform_work_group_size: 1
    .uses_dynamic_stack: false
    .vgpr_count:     12
    .vgpr_spill_count: 0
    .wavefront_size: 64
  - .agpr_count:     0
    .args:
      - .address_space:  global
        .offset:         0
        .size:           8
        .value_kind:     global_buffer
      - .address_space:  global
        .offset:         8
        .size:           8
        .value_kind:     global_buffer
      - .offset:         16
        .size:           4
        .value_kind:     by_value
    .group_segment_fixed_size: 32
    .kernarg_segment_align: 8
    .kernarg_segment_size: 20
    .language:       OpenCL C
    .language_version:
      - 2
      - 0
    .max_flat_workgroup_size: 512
    .name:           _Z19reduce_valid_kernelILj512ELN6hipcub20BlockReduceAlgorithmE0EiEvPT1_S3_j
    .private_segment_fixed_size: 0
    .sgpr_count:     12
    .sgpr_spill_count: 0
    .symbol:         _Z19reduce_valid_kernelILj512ELN6hipcub20BlockReduceAlgorithmE0EiEvPT1_S3_j.kd
    .uniform_work_group_size: 1
    .uses_dynamic_stack: false
    .vgpr_count:     12
    .vgpr_spill_count: 0
    .wavefront_size: 64
  - .agpr_count:     0
    .args:
      - .address_space:  global
        .offset:         0
        .size:           8
        .value_kind:     global_buffer
      - .address_space:  global
        .offset:         8
        .size:           8
        .value_kind:     global_buffer
      - .offset:         16
        .size:           4
        .value_kind:     by_value
    .group_segment_fixed_size: 16
    .kernarg_segment_align: 8
    .kernarg_segment_size: 20
    .language:       OpenCL C
    .language_version:
      - 2
      - 0
    .max_flat_workgroup_size: 256
    .name:           _Z19reduce_valid_kernelILj256ELN6hipcub20BlockReduceAlgorithmE0EiEvPT1_S3_j
    .private_segment_fixed_size: 0
    .sgpr_count:     12
    .sgpr_spill_count: 0
    .symbol:         _Z19reduce_valid_kernelILj256ELN6hipcub20BlockReduceAlgorithmE0EiEvPT1_S3_j.kd
    .uniform_work_group_size: 1
    .uses_dynamic_stack: false
    .vgpr_count:     12
    .vgpr_spill_count: 0
    .wavefront_size: 64
  - .agpr_count:     0
    .args:
      - .address_space:  global
        .offset:         0
        .size:           8
        .value_kind:     global_buffer
      - .address_space:  global
        .offset:         8
        .size:           8
        .value_kind:     global_buffer
      - .offset:         16
        .size:           4
        .value_kind:     by_value
    .group_segment_fixed_size: 12
    .kernarg_segment_align: 8
    .kernarg_segment_size: 20
    .language:       OpenCL C
    .language_version:
      - 2
      - 0
    .max_flat_workgroup_size: 192
    .name:           _Z19reduce_valid_kernelILj192ELN6hipcub20BlockReduceAlgorithmE0EiEvPT1_S3_j
    .private_segment_fixed_size: 0
    .sgpr_count:     12
    .sgpr_spill_count: 0
    .symbol:         _Z19reduce_valid_kernelILj192ELN6hipcub20BlockReduceAlgorithmE0EiEvPT1_S3_j.kd
    .uniform_work_group_size: 1
    .uses_dynamic_stack: false
    .vgpr_count:     12
    .vgpr_spill_count: 0
    .wavefront_size: 64
  - .agpr_count:     0
    .args:
      - .address_space:  global
        .offset:         0
        .size:           8
        .value_kind:     global_buffer
      - .address_space:  global
        .offset:         8
        .size:           8
        .value_kind:     global_buffer
      - .offset:         16
        .size:           4
        .value_kind:     by_value
    .group_segment_fixed_size: 8
    .kernarg_segment_align: 8
    .kernarg_segment_size: 20
    .language:       OpenCL C
    .language_version:
      - 2
      - 0
    .max_flat_workgroup_size: 128
    .name:           _Z19reduce_valid_kernelILj128ELN6hipcub20BlockReduceAlgorithmE0EiEvPT1_S3_j
    .private_segment_fixed_size: 0
    .sgpr_count:     12
    .sgpr_spill_count: 0
    .symbol:         _Z19reduce_valid_kernelILj128ELN6hipcub20BlockReduceAlgorithmE0EiEvPT1_S3_j.kd
    .uniform_work_group_size: 1
    .uses_dynamic_stack: false
    .vgpr_count:     12
    .vgpr_spill_count: 0
    .wavefront_size: 64
  - .agpr_count:     0
    .args:
      - .address_space:  global
        .offset:         0
        .size:           8
        .value_kind:     global_buffer
      - .address_space:  global
        .offset:         8
        .size:           8
        .value_kind:     global_buffer
      - .offset:         16
        .size:           4
        .value_kind:     by_value
    .group_segment_fixed_size: 0
    .kernarg_segment_align: 8
    .kernarg_segment_size: 20
    .language:       OpenCL C
    .language_version:
      - 2
      - 0
    .max_flat_workgroup_size: 64
    .name:           _Z19reduce_valid_kernelILj64ELN6hipcub20BlockReduceAlgorithmE0EiEvPT1_S3_j
    .private_segment_fixed_size: 0
    .sgpr_count:     13
    .sgpr_spill_count: 0
    .symbol:         _Z19reduce_valid_kernelILj64ELN6hipcub20BlockReduceAlgorithmE0EiEvPT1_S3_j.kd
    .uniform_work_group_size: 1
    .uses_dynamic_stack: false
    .vgpr_count:     12
    .vgpr_spill_count: 0
    .wavefront_size: 64
  - .agpr_count:     0
    .args:
      - .address_space:  global
        .offset:         0
        .size:           8
        .value_kind:     global_buffer
      - .address_space:  global
        .offset:         8
        .size:           8
        .value_kind:     global_buffer
    .group_segment_fixed_size: 64
    .kernarg_segment_align: 8
    .kernarg_segment_size: 16
    .language:       OpenCL C
    .language_version:
      - 2
      - 0
    .max_flat_workgroup_size: 32
    .name:           _Z19reduce_array_kernelILj32ELj4ELN6hipcub20BlockReduceAlgorithmE1E12hip_bfloat16EvPT2_S4_
    .private_segment_fixed_size: 0
    .sgpr_count:     12
    .sgpr_spill_count: 0
    .symbol:         _Z19reduce_array_kernelILj32ELj4ELN6hipcub20BlockReduceAlgorithmE1E12hip_bfloat16EvPT2_S4_.kd
    .uniform_work_group_size: 1
    .uses_dynamic_stack: false
    .vgpr_count:     8
    .vgpr_spill_count: 0
    .wavefront_size: 64
  - .agpr_count:     0
    .args:
      - .address_space:  global
        .offset:         0
        .size:           8
        .value_kind:     global_buffer
      - .address_space:  global
        .offset:         8
        .size:           8
        .value_kind:     global_buffer
    .group_segment_fixed_size: 64
    .kernarg_segment_align: 8
    .kernarg_segment_size: 16
    .language:       OpenCL C
    .language_version:
      - 2
      - 0
    .max_flat_workgroup_size: 32
    .name:           _Z19reduce_array_kernelILj32ELj4ELN6hipcub20BlockReduceAlgorithmE1E6__halfEvPT2_S4_
    .private_segment_fixed_size: 0
    .sgpr_count:     12
    .sgpr_spill_count: 0
    .symbol:         _Z19reduce_array_kernelILj32ELj4ELN6hipcub20BlockReduceAlgorithmE1E6__halfEvPT2_S4_.kd
    .uniform_work_group_size: 1
    .uses_dynamic_stack: false
    .vgpr_count:     6
    .vgpr_spill_count: 0
    .wavefront_size: 64
  - .agpr_count:     0
    .args:
      - .address_space:  global
        .offset:         0
        .size:           8
        .value_kind:     global_buffer
      - .address_space:  global
        .offset:         8
        .size:           8
        .value_kind:     global_buffer
    .group_segment_fixed_size: 1020
    .kernarg_segment_align: 8
    .kernarg_segment_size: 16
    .language:       OpenCL C
    .language_version:
      - 2
      - 0
    .max_flat_workgroup_size: 255
    .name:           _Z19reduce_array_kernelILj255ELj15ELN6hipcub20BlockReduceAlgorithmE1EfEvPT2_S3_
    .private_segment_fixed_size: 0
    .sgpr_count:     12
    .sgpr_spill_count: 0
    .symbol:         _Z19reduce_array_kernelILj255ELj15ELN6hipcub20BlockReduceAlgorithmE1EfEvPT2_S3_.kd
    .uniform_work_group_size: 1
    .uses_dynamic_stack: false
    .vgpr_count:     30
    .vgpr_spill_count: 0
    .wavefront_size: 64
  - .agpr_count:     0
    .args:
      - .address_space:  global
        .offset:         0
        .size:           8
        .value_kind:     global_buffer
      - .address_space:  global
        .offset:         8
        .size:           8
        .value_kind:     global_buffer
    .group_segment_fixed_size: 648
    .kernarg_segment_align: 8
    .kernarg_segment_size: 16
    .language:       OpenCL C
    .language_version:
      - 2
      - 0
    .max_flat_workgroup_size: 162
    .name:           _Z19reduce_array_kernelILj162ELj7ELN6hipcub20BlockReduceAlgorithmE1EfEvPT2_S3_
    .private_segment_fixed_size: 0
    .sgpr_count:     12
    .sgpr_spill_count: 0
    .symbol:         _Z19reduce_array_kernelILj162ELj7ELN6hipcub20BlockReduceAlgorithmE1EfEvPT2_S3_.kd
    .uniform_work_group_size: 1
    .uses_dynamic_stack: false
    .vgpr_count:     24
    .vgpr_spill_count: 0
    .wavefront_size: 64
  - .agpr_count:     0
    .args:
      - .address_space:  global
        .offset:         0
        .size:           8
        .value_kind:     global_buffer
      - .address_space:  global
        .offset:         8
        .size:           8
        .value_kind:     global_buffer
    .group_segment_fixed_size: 260
    .kernarg_segment_align: 8
    .kernarg_segment_size: 16
    .language:       OpenCL C
    .language_version:
      - 2
      - 0
    .max_flat_workgroup_size: 65
    .name:           _Z19reduce_array_kernelILj65ELj5ELN6hipcub20BlockReduceAlgorithmE1EfEvPT2_S3_
    .private_segment_fixed_size: 0
    .sgpr_count:     12
    .sgpr_spill_count: 0
    .symbol:         _Z19reduce_array_kernelILj65ELj5ELN6hipcub20BlockReduceAlgorithmE1EfEvPT2_S3_.kd
    .uniform_work_group_size: 1
    .uses_dynamic_stack: false
    .vgpr_count:     17
    .vgpr_spill_count: 0
    .wavefront_size: 64
  - .agpr_count:     0
    .args:
      - .address_space:  global
        .offset:         0
        .size:           8
        .value_kind:     global_buffer
      - .address_space:  global
        .offset:         8
        .size:           8
        .value_kind:     global_buffer
    .group_segment_fixed_size: 148
    .kernarg_segment_align: 8
    .kernarg_segment_size: 16
    .language:       OpenCL C
    .language_version:
      - 2
      - 0
    .max_flat_workgroup_size: 37
    .name:           _Z19reduce_array_kernelILj37ELj2ELN6hipcub20BlockReduceAlgorithmE1EfEvPT2_S3_
    .private_segment_fixed_size: 0
    .sgpr_count:     12
    .sgpr_spill_count: 0
    .symbol:         _Z19reduce_array_kernelILj37ELj2ELN6hipcub20BlockReduceAlgorithmE1EfEvPT2_S3_.kd
    .uniform_work_group_size: 1
    .uses_dynamic_stack: false
    .vgpr_count:     11
    .vgpr_spill_count: 0
    .wavefront_size: 64
  - .agpr_count:     0
    .args:
      - .address_space:  global
        .offset:         0
        .size:           8
        .value_kind:     global_buffer
      - .address_space:  global
        .offset:         8
        .size:           8
        .value_kind:     global_buffer
    .group_segment_fixed_size: 4096
    .kernarg_segment_align: 8
    .kernarg_segment_size: 16
    .language:       OpenCL C
    .language_version:
      - 2
      - 0
    .max_flat_workgroup_size: 1024
    .name:           _Z19reduce_array_kernelILj1024ELj1ELN6hipcub20BlockReduceAlgorithmE1EfEvPT2_S3_
    .private_segment_fixed_size: 0
    .sgpr_count:     12
    .sgpr_spill_count: 0
    .symbol:         _Z19reduce_array_kernelILj1024ELj1ELN6hipcub20BlockReduceAlgorithmE1EfEvPT2_S3_.kd
    .uniform_work_group_size: 1
    .uses_dynamic_stack: false
    .vgpr_count:     21
    .vgpr_spill_count: 0
    .wavefront_size: 64
  - .agpr_count:     0
    .args:
      - .address_space:  global
        .offset:         0
        .size:           8
        .value_kind:     global_buffer
      - .address_space:  global
        .offset:         8
        .size:           8
        .value_kind:     global_buffer
    .group_segment_fixed_size: 2048
    .kernarg_segment_align: 8
    .kernarg_segment_size: 16
    .language:       OpenCL C
    .language_version:
      - 2
      - 0
    .max_flat_workgroup_size: 512
    .name:           _Z19reduce_array_kernelILj512ELj4ELN6hipcub20BlockReduceAlgorithmE1EjEvPT2_S3_
    .private_segment_fixed_size: 0
    .sgpr_count:     12
    .sgpr_spill_count: 0
    .symbol:         _Z19reduce_array_kernelILj512ELj4ELN6hipcub20BlockReduceAlgorithmE1EjEvPT2_S3_.kd
    .uniform_work_group_size: 1
    .uses_dynamic_stack: false
    .vgpr_count:     13
    .vgpr_spill_count: 0
    .wavefront_size: 64
  - .agpr_count:     0
    .args:
      - .address_space:  global
        .offset:         0
        .size:           8
        .value_kind:     global_buffer
      - .address_space:  global
        .offset:         8
        .size:           8
        .value_kind:     global_buffer
    .group_segment_fixed_size: 1024
    .kernarg_segment_align: 8
    .kernarg_segment_size: 16
    .language:       OpenCL C
    .language_version:
      - 2
      - 0
    .max_flat_workgroup_size: 256
    .name:           _Z19reduce_array_kernelILj256ELj3ELN6hipcub20BlockReduceAlgorithmE1EiEvPT2_S3_
    .private_segment_fixed_size: 0
    .sgpr_count:     12
    .sgpr_spill_count: 0
    .symbol:         _Z19reduce_array_kernelILj256ELj3ELN6hipcub20BlockReduceAlgorithmE1EiEvPT2_S3_.kd
    .uniform_work_group_size: 1
    .uses_dynamic_stack: false
    .vgpr_count:     11
    .vgpr_spill_count: 0
    .wavefront_size: 64
  - .agpr_count:     0
    .args:
      - .address_space:  global
        .offset:         0
        .size:           8
        .value_kind:     global_buffer
      - .address_space:  global
        .offset:         8
        .size:           8
        .value_kind:     global_buffer
    .group_segment_fixed_size: 128
    .kernarg_segment_align: 8
    .kernarg_segment_size: 16
    .language:       OpenCL C
    .language_version:
      - 2
      - 0
    .max_flat_workgroup_size: 32
    .name:           _Z19reduce_array_kernelILj32ELj2ELN6hipcub20BlockReduceAlgorithmE1EfEvPT2_S3_
    .private_segment_fixed_size: 0
    .sgpr_count:     12
    .sgpr_spill_count: 0
    .symbol:         _Z19reduce_array_kernelILj32ELj2ELN6hipcub20BlockReduceAlgorithmE1EfEvPT2_S3_.kd
    .uniform_work_group_size: 1
    .uses_dynamic_stack: false
    .vgpr_count:     7
    .vgpr_spill_count: 0
    .wavefront_size: 64
  - .agpr_count:     0
    .args:
      - .address_space:  global
        .offset:         0
        .size:           8
        .value_kind:     global_buffer
      - .address_space:  global
        .offset:         8
        .size:           8
        .value_kind:     global_buffer
    .group_segment_fixed_size: 24
    .kernarg_segment_align: 8
    .kernarg_segment_size: 16
    .language:       OpenCL C
    .language_version:
      - 2
      - 0
    .max_flat_workgroup_size: 6
    .name:           _Z19reduce_array_kernelILj6ELj32ELN6hipcub20BlockReduceAlgorithmE1EfEvPT2_S3_
    .private_segment_fixed_size: 0
    .sgpr_count:     12
    .sgpr_spill_count: 0
    .symbol:         _Z19reduce_array_kernelILj6ELj32ELN6hipcub20BlockReduceAlgorithmE1EfEvPT2_S3_.kd
    .uniform_work_group_size: 1
    .uses_dynamic_stack: false
    .vgpr_count:     38
    .vgpr_spill_count: 0
    .wavefront_size: 64
  - .agpr_count:     0
    .args:
      - .address_space:  global
        .offset:         0
        .size:           8
        .value_kind:     global_buffer
      - .address_space:  global
        .offset:         8
        .size:           8
        .value_kind:     global_buffer
    .group_segment_fixed_size: 0
    .kernarg_segment_align: 8
    .kernarg_segment_size: 16
    .language:       OpenCL C
    .language_version:
      - 2
      - 0
    .max_flat_workgroup_size: 32
    .name:           _Z19reduce_array_kernelILj32ELj4ELN6hipcub20BlockReduceAlgorithmE0E12hip_bfloat16EvPT2_S4_
    .private_segment_fixed_size: 0
    .sgpr_count:     12
    .sgpr_spill_count: 0
    .symbol:         _Z19reduce_array_kernelILj32ELj4ELN6hipcub20BlockReduceAlgorithmE0E12hip_bfloat16EvPT2_S4_.kd
    .uniform_work_group_size: 1
    .uses_dynamic_stack: false
    .vgpr_count:     6
    .vgpr_spill_count: 0
    .wavefront_size: 64
  - .agpr_count:     0
    .args:
      - .address_space:  global
        .offset:         0
        .size:           8
        .value_kind:     global_buffer
      - .address_space:  global
        .offset:         8
        .size:           8
        .value_kind:     global_buffer
    .group_segment_fixed_size: 0
    .kernarg_segment_align: 8
    .kernarg_segment_size: 16
    .language:       OpenCL C
    .language_version:
      - 2
      - 0
    .max_flat_workgroup_size: 32
    .name:           _Z19reduce_array_kernelILj32ELj4ELN6hipcub20BlockReduceAlgorithmE0E6__halfEvPT2_S4_
    .private_segment_fixed_size: 0
    .sgpr_count:     12
    .sgpr_spill_count: 0
    .symbol:         _Z19reduce_array_kernelILj32ELj4ELN6hipcub20BlockReduceAlgorithmE0E6__halfEvPT2_S4_.kd
    .uniform_work_group_size: 1
    .uses_dynamic_stack: false
    .vgpr_count:     7
    .vgpr_spill_count: 0
    .wavefront_size: 64
  - .agpr_count:     0
    .args:
      - .address_space:  global
        .offset:         0
        .size:           8
        .value_kind:     global_buffer
      - .address_space:  global
        .offset:         8
        .size:           8
        .value_kind:     global_buffer
    .group_segment_fixed_size: 16
    .kernarg_segment_align: 8
    .kernarg_segment_size: 16
    .language:       OpenCL C
    .language_version:
      - 2
      - 0
    .max_flat_workgroup_size: 255
    .name:           _Z19reduce_array_kernelILj255ELj15ELN6hipcub20BlockReduceAlgorithmE0EfEvPT2_S3_
    .private_segment_fixed_size: 0
    .sgpr_count:     12
    .sgpr_spill_count: 0
    .symbol:         _Z19reduce_array_kernelILj255ELj15ELN6hipcub20BlockReduceAlgorithmE0EfEvPT2_S3_.kd
    .uniform_work_group_size: 1
    .uses_dynamic_stack: false
    .vgpr_count:     30
    .vgpr_spill_count: 0
    .wavefront_size: 64
  - .agpr_count:     0
    .args:
      - .address_space:  global
        .offset:         0
        .size:           8
        .value_kind:     global_buffer
      - .address_space:  global
        .offset:         8
        .size:           8
        .value_kind:     global_buffer
    .group_segment_fixed_size: 12
    .kernarg_segment_align: 8
    .kernarg_segment_size: 16
    .language:       OpenCL C
    .language_version:
      - 2
      - 0
    .max_flat_workgroup_size: 162
    .name:           _Z19reduce_array_kernelILj162ELj7ELN6hipcub20BlockReduceAlgorithmE0EfEvPT2_S3_
    .private_segment_fixed_size: 0
    .sgpr_count:     12
    .sgpr_spill_count: 0
    .symbol:         _Z19reduce_array_kernelILj162ELj7ELN6hipcub20BlockReduceAlgorithmE0EfEvPT2_S3_.kd
    .uniform_work_group_size: 1
    .uses_dynamic_stack: false
    .vgpr_count:     23
    .vgpr_spill_count: 0
    .wavefront_size: 64
  - .agpr_count:     0
    .args:
      - .address_space:  global
        .offset:         0
        .size:           8
        .value_kind:     global_buffer
      - .address_space:  global
        .offset:         8
        .size:           8
        .value_kind:     global_buffer
    .group_segment_fixed_size: 8
    .kernarg_segment_align: 8
    .kernarg_segment_size: 16
    .language:       OpenCL C
    .language_version:
      - 2
      - 0
    .max_flat_workgroup_size: 65
    .name:           _Z19reduce_array_kernelILj65ELj5ELN6hipcub20BlockReduceAlgorithmE0EfEvPT2_S3_
    .private_segment_fixed_size: 0
    .sgpr_count:     12
    .sgpr_spill_count: 0
    .symbol:         _Z19reduce_array_kernelILj65ELj5ELN6hipcub20BlockReduceAlgorithmE0EfEvPT2_S3_.kd
    .uniform_work_group_size: 1
    .uses_dynamic_stack: false
    .vgpr_count:     17
    .vgpr_spill_count: 0
    .wavefront_size: 64
  - .agpr_count:     0
    .args:
      - .address_space:  global
        .offset:         0
        .size:           8
        .value_kind:     global_buffer
      - .address_space:  global
        .offset:         8
        .size:           8
        .value_kind:     global_buffer
    .group_segment_fixed_size: 0
    .kernarg_segment_align: 8
    .kernarg_segment_size: 16
    .language:       OpenCL C
    .language_version:
      - 2
      - 0
    .max_flat_workgroup_size: 37
    .name:           _Z19reduce_array_kernelILj37ELj2ELN6hipcub20BlockReduceAlgorithmE0EfEvPT2_S3_
    .private_segment_fixed_size: 0
    .sgpr_count:     12
    .sgpr_spill_count: 0
    .symbol:         _Z19reduce_array_kernelILj37ELj2ELN6hipcub20BlockReduceAlgorithmE0EfEvPT2_S3_.kd
    .uniform_work_group_size: 1
    .uses_dynamic_stack: false
    .vgpr_count:     12
    .vgpr_spill_count: 0
    .wavefront_size: 64
  - .agpr_count:     0
    .args:
      - .address_space:  global
        .offset:         0
        .size:           8
        .value_kind:     global_buffer
      - .address_space:  global
        .offset:         8
        .size:           8
        .value_kind:     global_buffer
    .group_segment_fixed_size: 64
    .kernarg_segment_align: 8
    .kernarg_segment_size: 16
    .language:       OpenCL C
    .language_version:
      - 2
      - 0
    .max_flat_workgroup_size: 1024
    .name:           _Z19reduce_array_kernelILj1024ELj1ELN6hipcub20BlockReduceAlgorithmE0EfEvPT2_S3_
    .private_segment_fixed_size: 0
    .sgpr_count:     12
    .sgpr_spill_count: 0
    .symbol:         _Z19reduce_array_kernelILj1024ELj1ELN6hipcub20BlockReduceAlgorithmE0EfEvPT2_S3_.kd
    .uniform_work_group_size: 1
    .uses_dynamic_stack: false
    .vgpr_count:     6
    .vgpr_spill_count: 0
    .wavefront_size: 64
  - .agpr_count:     0
    .args:
      - .address_space:  global
        .offset:         0
        .size:           8
        .value_kind:     global_buffer
      - .address_space:  global
        .offset:         8
        .size:           8
        .value_kind:     global_buffer
    .group_segment_fixed_size: 32
    .kernarg_segment_align: 8
    .kernarg_segment_size: 16
    .language:       OpenCL C
    .language_version:
      - 2
      - 0
    .max_flat_workgroup_size: 512
    .name:           _Z19reduce_array_kernelILj512ELj4ELN6hipcub20BlockReduceAlgorithmE0EiEvPT2_S3_
    .private_segment_fixed_size: 0
    .sgpr_count:     12
    .sgpr_spill_count: 0
    .symbol:         _Z19reduce_array_kernelILj512ELj4ELN6hipcub20BlockReduceAlgorithmE0EiEvPT2_S3_.kd
    .uniform_work_group_size: 1
    .uses_dynamic_stack: false
    .vgpr_count:     7
    .vgpr_spill_count: 0
    .wavefront_size: 64
  - .agpr_count:     0
    .args:
      - .address_space:  global
        .offset:         0
        .size:           8
        .value_kind:     global_buffer
      - .address_space:  global
        .offset:         8
        .size:           8
        .value_kind:     global_buffer
    .group_segment_fixed_size: 16
    .kernarg_segment_align: 8
    .kernarg_segment_size: 16
    .language:       OpenCL C
    .language_version:
      - 2
      - 0
    .max_flat_workgroup_size: 256
    .name:           _Z19reduce_array_kernelILj256ELj3ELN6hipcub20BlockReduceAlgorithmE0EjEvPT2_S3_
    .private_segment_fixed_size: 0
    .sgpr_count:     12
    .sgpr_spill_count: 0
    .symbol:         _Z19reduce_array_kernelILj256ELj3ELN6hipcub20BlockReduceAlgorithmE0EjEvPT2_S3_.kd
    .uniform_work_group_size: 1
    .uses_dynamic_stack: false
    .vgpr_count:     11
    .vgpr_spill_count: 0
    .wavefront_size: 64
  - .agpr_count:     0
    .args:
      - .address_space:  global
        .offset:         0
        .size:           8
        .value_kind:     global_buffer
      - .address_space:  global
        .offset:         8
        .size:           8
        .value_kind:     global_buffer
    .group_segment_fixed_size: 0
    .kernarg_segment_align: 8
    .kernarg_segment_size: 16
    .language:       OpenCL C
    .language_version:
      - 2
      - 0
    .max_flat_workgroup_size: 32
    .name:           _Z19reduce_array_kernelILj32ELj2ELN6hipcub20BlockReduceAlgorithmE0EfEvPT2_S3_
    .private_segment_fixed_size: 0
    .sgpr_count:     12
    .sgpr_spill_count: 0
    .symbol:         _Z19reduce_array_kernelILj32ELj2ELN6hipcub20BlockReduceAlgorithmE0EfEvPT2_S3_.kd
    .uniform_work_group_size: 1
    .uses_dynamic_stack: false
    .vgpr_count:     7
    .vgpr_spill_count: 0
    .wavefront_size: 64
  - .agpr_count:     0
    .args:
      - .address_space:  global
        .offset:         0
        .size:           8
        .value_kind:     global_buffer
      - .address_space:  global
        .offset:         8
        .size:           8
        .value_kind:     global_buffer
    .group_segment_fixed_size: 0
    .kernarg_segment_align: 8
    .kernarg_segment_size: 16
    .language:       OpenCL C
    .language_version:
      - 2
      - 0
    .max_flat_workgroup_size: 6
    .name:           _Z19reduce_array_kernelILj6ELj32ELN6hipcub20BlockReduceAlgorithmE0EfEvPT2_S3_
    .private_segment_fixed_size: 0
    .sgpr_count:     12
    .sgpr_spill_count: 0
    .symbol:         _Z19reduce_array_kernelILj6ELj32ELN6hipcub20BlockReduceAlgorithmE0EfEvPT2_S3_.kd
    .uniform_work_group_size: 1
    .uses_dynamic_stack: false
    .vgpr_count:     40
    .vgpr_spill_count: 0
    .wavefront_size: 64
amdhsa.target:   amdgcn-amd-amdhsa--gfx90a
amdhsa.version:
  - 1
  - 2
...

	.end_amdgpu_metadata
